;; amdgpu-corpus repo=ROCm/rocFFT kind=compiled arch=gfx950 opt=O3
	.text
	.amdgcn_target "amdgcn-amd-amdhsa--gfx950"
	.amdhsa_code_object_version 6
	.protected	fft_rtc_fwd_len121_factors_11_11_wgs_121_tpt_11_sp_ip_CI_sbcc_twdbase6_3step ; -- Begin function fft_rtc_fwd_len121_factors_11_11_wgs_121_tpt_11_sp_ip_CI_sbcc_twdbase6_3step
	.globl	fft_rtc_fwd_len121_factors_11_11_wgs_121_tpt_11_sp_ip_CI_sbcc_twdbase6_3step
	.p2align	8
	.type	fft_rtc_fwd_len121_factors_11_11_wgs_121_tpt_11_sp_ip_CI_sbcc_twdbase6_3step,@function
fft_rtc_fwd_len121_factors_11_11_wgs_121_tpt_11_sp_ip_CI_sbcc_twdbase6_3step: ; @fft_rtc_fwd_len121_factors_11_11_wgs_121_tpt_11_sp_ip_CI_sbcc_twdbase6_3step
; %bb.0:
	s_load_dwordx2 s[16:17], s[0:1], 0x58
	s_load_dwordx2 s[48:49], s[0:1], 0x0
	s_load_dwordx8 s[4:11], s[0:1], 0x8
	s_movk_i32 s0, 0xc0
	v_cmp_gt_u32_e32 vcc, s0, v0
	s_and_saveexec_b64 s[0:1], vcc
	s_cbranch_execz .LBB0_3
; %bb.1:
	s_movk_i32 s12, 0xff87
	v_mov_b32_e32 v1, 0
	s_mov_b32 s13, -1
	v_lshlrev_b32_e32 v6, 3, v0
	v_lshl_add_u64 v[2:3], v[0:1], 0, s[12:13]
	v_mov_b32_e32 v7, v1
	v_add_u32_e32 v1, 0, v6
	s_waitcnt lgkmcnt(0)
	v_lshl_add_u64 v[4:5], s[4:5], 0, v[6:7]
	v_add_u32_e32 v1, 0x2998, v1
	s_mov_b64 s[4:5], 0
	s_mov_b64 s[12:13], 0x79
	;; [unrolled: 1-line block ×4, first 2 shown]
.LBB0_2:                                ; =>This Inner Loop Header: Depth=1
	global_load_dwordx2 v[6:7], v[4:5], off
	v_lshl_add_u64 v[2:3], v[2:3], 0, s[12:13]
	v_cmp_lt_u64_e32 vcc, s[18:19], v[2:3]
	v_lshl_add_u64 v[4:5], v[4:5], 0, s[14:15]
	s_or_b64 s[4:5], vcc, s[4:5]
	s_waitcnt vmcnt(0)
	ds_write_b64 v1, v[6:7]
	v_add_u32_e32 v1, 0x3c8, v1
	s_andn2_b64 exec, exec, s[4:5]
	s_cbranch_execnz .LBB0_2
.LBB0_3:
	s_or_b64 exec, exec, s[0:1]
	s_waitcnt lgkmcnt(0)
	s_load_dwordx2 s[4:5], s[8:9], 0x8
	s_mov_b32 s3, 0
	s_mov_b64 s[22:23], 0
	s_waitcnt lgkmcnt(0)
	s_add_u32 s0, s4, -1
	s_addc_u32 s1, s5, -1
	s_add_u32 s12, 0, 0x5d161400
	s_addc_u32 s13, 0, 0x54
	s_mul_hi_u32 s15, s12, -11
	s_add_i32 s13, s13, 0x1745d120
	s_sub_i32 s15, s15, s12
	s_mul_i32 s20, s13, -11
	s_mul_i32 s14, s12, -11
	s_add_i32 s15, s15, s20
	s_mul_hi_u32 s18, s13, s14
	s_mul_i32 s19, s13, s14
	s_mul_i32 s21, s12, s15
	s_mul_hi_u32 s14, s12, s14
	s_mul_hi_u32 s20, s12, s15
	s_add_u32 s14, s14, s21
	s_addc_u32 s20, 0, s20
	s_add_u32 s14, s14, s19
	s_mul_hi_u32 s21, s13, s15
	s_addc_u32 s14, s20, s18
	s_addc_u32 s18, s21, 0
	s_mul_i32 s15, s13, s15
	s_add_u32 s14, s14, s15
	v_mov_b32_e32 v1, s14
	s_addc_u32 s15, 0, s18
	v_add_co_u32_e32 v1, vcc, s12, v1
	s_cmp_lg_u64 vcc, 0
	s_addc_u32 s12, s13, s15
	v_readfirstlane_b32 s15, v1
	s_mul_i32 s14, s0, s12
	s_mul_hi_u32 s18, s0, s15
	s_mul_hi_u32 s13, s0, s12
	s_add_u32 s14, s18, s14
	s_addc_u32 s13, 0, s13
	s_mul_hi_u32 s19, s1, s15
	s_mul_i32 s15, s1, s15
	s_add_u32 s14, s14, s15
	s_mul_hi_u32 s18, s1, s12
	s_addc_u32 s13, s13, s19
	s_addc_u32 s14, s18, 0
	s_mul_i32 s12, s1, s12
	s_add_u32 s12, s13, s12
	s_addc_u32 s13, 0, s14
	s_add_u32 s14, s12, 1
	s_addc_u32 s15, s13, 0
	s_add_u32 s18, s12, 2
	s_mul_i32 s20, s13, 11
	s_mul_hi_u32 s21, s12, 11
	s_addc_u32 s19, s13, 0
	s_add_i32 s21, s21, s20
	s_mul_i32 s20, s12, 11
	v_mov_b32_e32 v1, s20
	v_sub_co_u32_e32 v1, vcc, s0, v1
	s_cmp_lg_u64 vcc, 0
	s_subb_u32 s0, s1, s21
	v_subrev_co_u32_e32 v2, vcc, 11, v1
	s_cmp_lg_u64 vcc, 0
	s_subb_u32 s1, s0, 0
	v_readfirstlane_b32 s20, v2
	s_cmp_gt_u32 s20, 10
	s_cselect_b32 s20, -1, 0
	s_cmp_eq_u32 s1, 0
	s_cselect_b32 s1, s20, -1
	s_cmp_lg_u32 s1, 0
	s_cselect_b32 s1, s18, s14
	s_cselect_b32 s14, s19, s15
	v_readfirstlane_b32 s15, v1
	s_cmp_gt_u32 s15, 10
	s_cselect_b32 s15, -1, 0
	s_cmp_eq_u32 s0, 0
	s_cselect_b32 s0, s15, -1
	s_cmp_lg_u32 s0, 0
	s_cselect_b32 s1, s1, s12
	s_cselect_b32 s0, s14, s13
	s_add_u32 s20, s1, 1
	s_addc_u32 s21, s0, 0
	v_mov_b64_e32 v[2:3], s[20:21]
	v_cmp_lt_u64_e32 vcc, s[2:3], v[2:3]
	s_cbranch_vccnz .LBB0_5
; %bb.4:
	v_cvt_f32_u32_e32 v1, s20
	s_sub_i32 s0, 0, s20
	s_mov_b32 s23, s3
	v_rcp_iflag_f32_e32 v1, v1
	s_nop 0
	v_mul_f32_e32 v1, 0x4f7ffffe, v1
	v_cvt_u32_f32_e32 v1, v1
	s_nop 0
	v_readfirstlane_b32 s1, v1
	s_mul_i32 s0, s0, s1
	s_mul_hi_u32 s0, s1, s0
	s_add_i32 s1, s1, s0
	s_mul_hi_u32 s0, s2, s1
	s_mul_i32 s12, s0, s20
	s_sub_i32 s12, s2, s12
	s_add_i32 s1, s0, 1
	s_sub_i32 s13, s12, s20
	s_cmp_ge_u32 s12, s20
	s_cselect_b32 s0, s1, s0
	s_cselect_b32 s12, s13, s12
	s_add_i32 s1, s0, 1
	s_cmp_ge_u32 s12, s20
	s_cselect_b32 s22, s1, s0
.LBB0_5:
	s_mul_i32 s0, s22, s21
	s_mul_hi_u32 s1, s22, s20
	s_load_dwordx4 s[12:15], s[10:11], 0x0
	s_add_i32 s1, s1, s0
	s_mul_i32 s0, s22, s20
	s_sub_u32 s0, s2, s0
	s_subb_u32 s1, 0, s1
	s_mul_i32 s1, s1, 11
	s_mul_hi_u32 s18, s0, 11
	s_add_i32 s19, s18, s1
	s_mul_i32 s18, s0, 11
	s_waitcnt lgkmcnt(0)
	s_mul_i32 s0, s14, s19
	s_mul_hi_u32 s1, s14, s18
	s_add_i32 s0, s1, s0
	s_mul_i32 s1, s15, s18
	s_add_i32 s33, s0, s1
	v_cmp_lt_u64_e64 s[0:1], s[6:7], 3
	s_mul_i32 s36, s14, s18
	s_and_b64 vcc, exec, s[0:1]
	s_cbranch_vccnz .LBB0_15
; %bb.6:
	s_add_u32 s24, s10, 16
	s_addc_u32 s25, s11, 0
	s_add_u32 s8, s8, 16
	s_addc_u32 s9, s9, 0
	s_mov_b64 s[26:27], 2
	s_mov_b32 s28, 0
	v_mov_b64_e32 v[2:3], s[6:7]
.LBB0_7:                                ; =>This Inner Loop Header: Depth=1
	s_load_dwordx2 s[30:31], s[8:9], 0x0
	s_waitcnt lgkmcnt(0)
	s_or_b64 s[0:1], s[22:23], s[30:31]
	s_mov_b32 s29, s1
	s_cmp_lg_u64 s[28:29], 0
	s_cbranch_scc0 .LBB0_12
; %bb.8:                                ;   in Loop: Header=BB0_7 Depth=1
	v_cvt_f32_u32_e32 v1, s30
	v_cvt_f32_u32_e32 v4, s31
	s_sub_u32 s0, 0, s30
	s_subb_u32 s1, 0, s31
	v_fmac_f32_e32 v1, 0x4f800000, v4
	v_rcp_f32_e32 v1, v1
	s_nop 0
	v_mul_f32_e32 v1, 0x5f7ffffc, v1
	v_mul_f32_e32 v4, 0x2f800000, v1
	v_trunc_f32_e32 v4, v4
	v_fmac_f32_e32 v1, 0xcf800000, v4
	v_cvt_u32_f32_e32 v4, v4
	v_cvt_u32_f32_e32 v1, v1
	v_readfirstlane_b32 s29, v4
	v_readfirstlane_b32 s34, v1
	s_mul_i32 s35, s0, s29
	s_mul_hi_u32 s38, s0, s34
	s_mul_i32 s37, s1, s34
	s_add_i32 s35, s38, s35
	s_mul_i32 s39, s0, s34
	s_add_i32 s35, s35, s37
	s_mul_hi_u32 s37, s34, s35
	s_mul_i32 s38, s34, s35
	s_mul_hi_u32 s34, s34, s39
	s_add_u32 s34, s34, s38
	s_addc_u32 s37, 0, s37
	s_mul_hi_u32 s40, s29, s39
	s_mul_i32 s39, s29, s39
	s_add_u32 s34, s34, s39
	s_mul_hi_u32 s38, s29, s35
	s_addc_u32 s34, s37, s40
	s_addc_u32 s37, s38, 0
	s_mul_i32 s35, s29, s35
	s_add_u32 s34, s34, s35
	s_addc_u32 s35, 0, s37
	v_add_co_u32_e32 v1, vcc, s34, v1
	s_cmp_lg_u64 vcc, 0
	s_addc_u32 s29, s29, s35
	v_readfirstlane_b32 s35, v1
	s_mul_i32 s34, s0, s29
	s_mul_hi_u32 s37, s0, s35
	s_add_i32 s34, s37, s34
	s_mul_i32 s1, s1, s35
	s_add_i32 s34, s34, s1
	s_mul_i32 s0, s0, s35
	s_mul_hi_u32 s37, s29, s0
	s_mul_i32 s38, s29, s0
	s_mul_i32 s40, s35, s34
	s_mul_hi_u32 s0, s35, s0
	s_mul_hi_u32 s39, s35, s34
	s_add_u32 s0, s0, s40
	s_addc_u32 s35, 0, s39
	s_add_u32 s0, s0, s38
	s_mul_hi_u32 s1, s29, s34
	s_addc_u32 s0, s35, s37
	s_addc_u32 s1, s1, 0
	s_mul_i32 s34, s29, s34
	s_add_u32 s0, s0, s34
	s_addc_u32 s1, 0, s1
	v_add_co_u32_e32 v1, vcc, s0, v1
	s_cmp_lg_u64 vcc, 0
	s_addc_u32 s0, s29, s1
	v_readfirstlane_b32 s34, v1
	s_mul_i32 s29, s22, s0
	s_mul_hi_u32 s35, s22, s34
	s_mul_hi_u32 s1, s22, s0
	s_add_u32 s29, s35, s29
	s_addc_u32 s1, 0, s1
	s_mul_hi_u32 s37, s23, s34
	s_mul_i32 s34, s23, s34
	s_add_u32 s29, s29, s34
	s_mul_hi_u32 s35, s23, s0
	s_addc_u32 s1, s1, s37
	s_addc_u32 s29, s35, 0
	s_mul_i32 s0, s23, s0
	s_add_u32 s34, s1, s0
	s_addc_u32 s29, 0, s29
	s_mul_i32 s0, s30, s29
	s_mul_hi_u32 s1, s30, s34
	s_add_i32 s0, s1, s0
	s_mul_i32 s1, s31, s34
	s_add_i32 s35, s0, s1
	s_mul_i32 s1, s30, s34
	v_mov_b32_e32 v1, s1
	s_sub_i32 s0, s23, s35
	v_sub_co_u32_e32 v1, vcc, s22, v1
	s_cmp_lg_u64 vcc, 0
	s_subb_u32 s37, s0, s31
	v_subrev_co_u32_e64 v4, s[0:1], s30, v1
	s_cmp_lg_u64 s[0:1], 0
	s_subb_u32 s0, s37, 0
	s_cmp_ge_u32 s0, s31
	v_readfirstlane_b32 s37, v4
	s_cselect_b32 s1, -1, 0
	s_cmp_ge_u32 s37, s30
	s_cselect_b32 s37, -1, 0
	s_cmp_eq_u32 s0, s31
	s_cselect_b32 s0, s37, s1
	s_add_u32 s1, s34, 1
	s_addc_u32 s37, s29, 0
	s_add_u32 s38, s34, 2
	s_addc_u32 s39, s29, 0
	s_cmp_lg_u32 s0, 0
	s_cselect_b32 s0, s38, s1
	s_cselect_b32 s1, s39, s37
	s_cmp_lg_u64 vcc, 0
	s_subb_u32 s35, s23, s35
	s_cmp_ge_u32 s35, s31
	v_readfirstlane_b32 s38, v1
	s_cselect_b32 s37, -1, 0
	s_cmp_ge_u32 s38, s30
	s_cselect_b32 s38, -1, 0
	s_cmp_eq_u32 s35, s31
	s_cselect_b32 s35, s38, s37
	s_cmp_lg_u32 s35, 0
	s_cselect_b32 s1, s1, s29
	s_cselect_b32 s0, s0, s34
	s_cbranch_execnz .LBB0_10
.LBB0_9:                                ;   in Loop: Header=BB0_7 Depth=1
	v_cvt_f32_u32_e32 v1, s30
	s_sub_i32 s0, 0, s30
	v_rcp_iflag_f32_e32 v1, v1
	s_nop 0
	v_mul_f32_e32 v1, 0x4f7ffffe, v1
	v_cvt_u32_f32_e32 v1, v1
	s_nop 0
	v_readfirstlane_b32 s1, v1
	s_mul_i32 s0, s0, s1
	s_mul_hi_u32 s0, s1, s0
	s_add_i32 s1, s1, s0
	s_mul_hi_u32 s0, s22, s1
	s_mul_i32 s29, s0, s30
	s_sub_i32 s29, s22, s29
	s_add_i32 s1, s0, 1
	s_sub_i32 s34, s29, s30
	s_cmp_ge_u32 s29, s30
	s_cselect_b32 s0, s1, s0
	s_cselect_b32 s29, s34, s29
	s_add_i32 s1, s0, 1
	s_cmp_ge_u32 s29, s30
	s_cselect_b32 s0, s1, s0
	s_mov_b32 s1, s28
.LBB0_10:                               ;   in Loop: Header=BB0_7 Depth=1
	s_mul_i32 s21, s30, s21
	s_mul_hi_u32 s29, s30, s20
	s_add_i32 s21, s29, s21
	s_mul_i32 s29, s31, s20
	s_add_i32 s21, s21, s29
	s_mul_i32 s29, s0, s31
	s_mul_hi_u32 s31, s0, s30
	s_load_dwordx2 s[34:35], s[24:25], 0x0
	s_add_i32 s29, s31, s29
	s_mul_i32 s31, s1, s30
	s_mul_i32 s20, s30, s20
	s_add_i32 s29, s29, s31
	s_mul_i32 s30, s0, s30
	s_sub_u32 s22, s22, s30
	s_subb_u32 s23, s23, s29
	s_waitcnt lgkmcnt(0)
	s_mul_i32 s23, s34, s23
	s_mul_hi_u32 s29, s34, s22
	s_add_i32 s23, s29, s23
	s_mul_i32 s29, s35, s22
	s_add_i32 s23, s23, s29
	s_mul_i32 s22, s34, s22
	s_add_u32 s36, s22, s36
	s_addc_u32 s33, s23, s33
	s_add_u32 s26, s26, 1
	s_addc_u32 s27, s27, 0
	;; [unrolled: 2-line block ×3, first 2 shown]
	s_add_u32 s8, s8, 8
	v_cmp_ge_u64_e32 vcc, s[26:27], v[2:3]
	s_addc_u32 s9, s9, 0
	s_cbranch_vccnz .LBB0_13
; %bb.11:                               ;   in Loop: Header=BB0_7 Depth=1
	s_mov_b64 s[22:23], s[0:1]
	s_branch .LBB0_7
.LBB0_12:                               ;   in Loop: Header=BB0_7 Depth=1
                                        ; implicit-def: $sgpr0_sgpr1
	s_branch .LBB0_9
.LBB0_13:
	v_mov_b64_e32 v[2:3], s[20:21]
	v_cmp_lt_u64_e32 vcc, s[2:3], v[2:3]
	s_mov_b64 s[22:23], 0
	s_cbranch_vccnz .LBB0_15
; %bb.14:
	v_cvt_f32_u32_e32 v1, s20
	s_sub_i32 s0, 0, s20
	v_rcp_iflag_f32_e32 v1, v1
	s_nop 0
	v_mul_f32_e32 v1, 0x4f7ffffe, v1
	v_cvt_u32_f32_e32 v1, v1
	s_nop 0
	v_readfirstlane_b32 s1, v1
	s_mul_i32 s0, s0, s1
	s_mul_hi_u32 s0, s1, s0
	s_add_i32 s1, s1, s0
	s_mul_hi_u32 s0, s2, s1
	s_mul_i32 s3, s0, s20
	s_sub_i32 s2, s2, s3
	s_add_i32 s1, s0, 1
	s_sub_i32 s3, s2, s20
	s_cmp_ge_u32 s2, s20
	s_cselect_b32 s0, s1, s0
	s_cselect_b32 s2, s3, s2
	s_add_i32 s1, s0, 1
	s_cmp_ge_u32 s2, s20
	s_cselect_b32 s22, s1, s0
.LBB0_15:
	s_lshl_b64 s[0:1], s[6:7], 3
	s_add_u32 s0, s10, s0
	s_addc_u32 s1, s11, s1
	s_load_dwordx2 s[0:1], s[0:1], 0x0
	s_mov_b32 s2, 0x1745d175
	v_mul_hi_u32 v2, v0, s2
	v_mov_b32_e32 v3, 0
	v_mul_u32_u24_e32 v1, 11, v2
	s_waitcnt lgkmcnt(0)
	s_mul_i32 s1, s1, s22
	s_mul_hi_u32 s2, s0, s22
	s_mul_i32 s0, s0, s22
	s_add_i32 s1, s2, s1
	s_add_u32 s2, s0, s36
	s_addc_u32 s3, s1, s33
	s_add_u32 s0, s18, 11
	s_addc_u32 s1, s19, 0
	v_mov_b64_e32 v[4:5], s[4:5]
	v_sub_u32_e32 v0, v0, v1
	v_mov_b32_e32 v1, v3
	v_cmp_le_u64_e32 vcc, s[0:1], v[4:5]
	v_lshl_add_u64 v[4:5], s[18:19], 0, v[0:1]
	v_cmp_gt_u64_e64 s[0:1], s[4:5], v[4:5]
	s_or_b64 s[4:5], vcc, s[0:1]
	v_lshlrev_b32_e32 v63, 3, v2
	v_add_u32_e32 v61, 11, v2
	v_add_u32_e32 v51, 22, v2
	;; [unrolled: 1-line block ×5, first 2 shown]
	s_and_saveexec_b64 s[0:1], s[4:5]
	s_cbranch_execz .LBB0_17
; %bb.16:
	v_mad_u64_u32 v[6:7], s[6:7], s14, v0, 0
	v_mov_b32_e32 v4, v7
	v_mad_u64_u32 v[8:9], s[6:7], s15, v0, v[4:5]
	v_mov_b32_e32 v7, v8
	;; [unrolled: 2-line block ×3, first 2 shown]
	v_mad_u64_u32 v[10:11], s[6:7], s13, v2, v[4:5]
	s_lshl_b64 s[6:7], s[2:3], 3
	s_add_u32 s6, s16, s6
	s_addc_u32 s7, s17, s7
	v_mov_b32_e32 v9, v10
	v_lshl_add_u64 v[6:7], v[6:7], 3, s[6:7]
	v_mad_u64_u32 v[10:11], s[6:7], s12, v61, 0
	v_mov_b32_e32 v4, v11
	v_mad_u64_u32 v[12:13], s[6:7], s13, v61, v[4:5]
	v_mov_b32_e32 v11, v12
	;; [unrolled: 2-line block ×5, first 2 shown]
	v_mad_u64_u32 v[16:17], s[6:7], s13, v49, v[4:5]
	v_lshl_add_u64 v[8:9], v[8:9], 3, v[6:7]
	v_mov_b32_e32 v15, v16
	v_lshl_add_u64 v[10:11], v[10:11], 3, v[6:7]
	v_lshl_add_u64 v[12:13], v[12:13], 3, v[6:7]
	;; [unrolled: 1-line block ×3, first 2 shown]
	global_load_dwordx2 v[16:17], v[8:9], off
	global_load_dwordx2 v[18:19], v[10:11], off
	;; [unrolled: 1-line block ×4, first 2 shown]
	v_mad_u64_u32 v[8:9], s[6:7], s12, v5, 0
	v_mov_b32_e32 v4, v9
	v_mad_u64_u32 v[10:11], s[6:7], s13, v5, v[4:5]
	v_mov_b32_e32 v9, v10
	;; [unrolled: 2-line block ×3, first 2 shown]
	v_mad_u64_u32 v[12:13], s[6:7], s13, v1, v[4:5]
	v_add_u32_e32 v14, 0x42, v2
	v_mov_b32_e32 v11, v12
	v_mad_u64_u32 v[12:13], s[6:7], s12, v14, 0
	v_mov_b32_e32 v4, v13
	v_mad_u64_u32 v[14:15], s[6:7], s13, v14, v[4:5]
	v_add_u32_e32 v24, 0x4d, v2
	v_mov_b32_e32 v13, v14
	v_mad_u64_u32 v[14:15], s[6:7], s12, v24, 0
	v_mov_b32_e32 v4, v15
	v_mad_u64_u32 v[24:25], s[6:7], s13, v24, v[4:5]
	v_lshl_add_u64 v[8:9], v[8:9], 3, v[6:7]
	v_lshl_add_u64 v[10:11], v[10:11], 3, v[6:7]
	v_mov_b32_e32 v15, v24
	v_lshl_add_u64 v[12:13], v[12:13], 3, v[6:7]
	v_lshl_add_u64 v[14:15], v[14:15], 3, v[6:7]
	global_load_dwordx2 v[24:25], v[8:9], off
	global_load_dwordx2 v[26:27], v[10:11], off
	;; [unrolled: 1-line block ×4, first 2 shown]
	v_add_u32_e32 v10, 0x58, v2
	v_mad_u64_u32 v[8:9], s[6:7], s12, v10, 0
	v_mov_b32_e32 v4, v9
	v_mad_u64_u32 v[10:11], s[6:7], s13, v10, v[4:5]
	v_add_u32_e32 v12, 0x63, v2
	v_mov_b32_e32 v9, v10
	v_mad_u64_u32 v[10:11], s[6:7], s12, v12, 0
	v_mov_b32_e32 v4, v11
	v_mad_u64_u32 v[12:13], s[6:7], s13, v12, v[4:5]
	v_add_u32_e32 v14, 0x6e, v2
	v_mov_b32_e32 v11, v12
	v_mad_u64_u32 v[12:13], s[6:7], s12, v14, 0
	v_mov_b32_e32 v4, v13
	v_mad_u64_u32 v[14:15], s[6:7], s13, v14, v[4:5]
	v_lshl_add_u64 v[8:9], v[8:9], 3, v[6:7]
	v_mov_b32_e32 v13, v14
	v_lshl_add_u64 v[10:11], v[10:11], 3, v[6:7]
	v_lshl_add_u64 v[6:7], v[12:13], 3, v[6:7]
	global_load_dwordx2 v[12:13], v[8:9], off
	global_load_dwordx2 v[14:15], v[10:11], off
	;; [unrolled: 1-line block ×3, first 2 shown]
	s_movk_i32 s6, 0x3c8
	v_mul_lo_u32 v4, v0, s6
	v_add3_u32 v4, 0, v4, v63
	s_waitcnt vmcnt(9)
	ds_write2_b64 v4, v[16:17], v[18:19] offset1:11
	s_waitcnt vmcnt(7)
	ds_write2_b64 v4, v[20:21], v[22:23] offset0:22 offset1:33
	s_waitcnt vmcnt(5)
	ds_write2_b64 v4, v[24:25], v[26:27] offset0:44 offset1:55
	;; [unrolled: 2-line block ×4, first 2 shown]
	s_waitcnt vmcnt(0)
	ds_write_b64 v4, v[32:33] offset:880
.LBB0_17:
	s_or_b64 exec, exec, s[0:1]
	s_add_u32 s0, 0, 0x5d161400
	s_addc_u32 s1, 0, 0x54
	s_add_i32 s1, s1, 0x1745d120
	s_mul_hi_u32 s9, s0, -11
	s_sub_i32 s9, s9, s0
	s_mul_i32 s10, s1, -11
	s_mul_i32 s6, s0, -11
	s_add_i32 s9, s9, s10
	s_mul_hi_u32 s7, s1, s6
	s_mul_i32 s8, s1, s6
	s_mul_i32 s11, s0, s9
	s_mul_hi_u32 s6, s0, s6
	s_mul_hi_u32 s10, s0, s9
	s_add_u32 s6, s6, s11
	s_addc_u32 s10, 0, s10
	s_add_u32 s6, s6, s8
	s_mul_hi_u32 s11, s1, s9
	s_addc_u32 s6, s10, s7
	s_addc_u32 s7, s11, 0
	s_mul_i32 s8, s1, s9
	s_add_u32 s6, s6, s8
	v_mov_b32_e32 v4, s6
	s_addc_u32 s7, 0, s7
	v_add_co_u32_e32 v4, vcc, s0, v4
	s_cmp_lg_u64 vcc, 0
	v_lshl_add_u64 v[8:9], s[18:19], 0, v[2:3]
	s_addc_u32 s6, s1, s7
	v_mad_u64_u32 v[6:7], s[0:1], v8, s6, 0
	v_mul_hi_u32 v10, v8, v4
	v_mov_b32_e32 v11, v3
	v_lshl_add_u64 v[6:7], v[10:11], 0, v[6:7]
	v_mad_u64_u32 v[12:13], s[0:1], v9, v4, 0
	v_add_co_u32_e32 v4, vcc, v6, v12
	v_mad_u64_u32 v[10:11], s[0:1], v9, s6, 0
	s_nop 0
	v_addc_co_u32_e32 v6, vcc, v7, v13, vcc
	v_mov_b32_e32 v7, v3
	s_nop 0
	v_addc_co_u32_e32 v11, vcc, 0, v11, vcc
	v_lshl_add_u64 v[6:7], v[6:7], 0, v[10:11]
	v_mad_u64_u32 v[10:11], s[0:1], v6, 11, 0
	v_mov_b32_e32 v4, v11
	v_mad_u64_u32 v[6:7], s[0:1], v7, 11, v[4:5]
	v_sub_co_u32_e32 v4, vcc, v8, v10
	s_waitcnt lgkmcnt(0)
	s_nop 0
	v_subb_co_u32_e32 v6, vcc, v9, v6, vcc
	v_subrev_co_u32_e32 v7, vcc, 11, v4
	v_cmp_lt_u32_e64 s[0:1], 10, v7
	s_nop 0
	v_subbrev_co_u32_e32 v9, vcc, 0, v6, vcc
	v_cmp_eq_u32_e32 vcc, 0, v9
	v_cndmask_b32_e64 v9, 0, -1, s[0:1]
	v_cmp_lt_u32_e64 s[0:1], 10, v4
	v_cndmask_b32_e32 v9, -1, v9, vcc
	v_cmp_ne_u32_e32 vcc, 0, v9
	v_add_u32_e32 v9, -11, v7
	s_barrier
	v_cndmask_b32_e32 v7, v7, v9, vcc
	v_cmp_eq_u32_e32 vcc, 0, v6
	v_cndmask_b32_e64 v6, 0, -1, s[0:1]
	s_nop 0
	v_cndmask_b32_e32 v6, -1, v6, vcc
	v_cmp_ne_u32_e32 vcc, 0, v6
	v_lshlrev_b32_e32 v6, 3, v0
	s_movk_i32 s0, 0x50
	v_cndmask_b32_e32 v4, v4, v7, vcc
	v_mul_u32_u24_e32 v4, 0x79, v4
	v_lshlrev_b32_e32 v4, 3, v4
	v_add3_u32 v9, 0, v4, v6
	v_add3_u32 v4, 0, v6, v4
	ds_read_b64 v[10:11], v9
	ds_read2_b64 v[12:15], v4 offset0:11 offset1:22
	ds_read2_b64 v[16:19], v4 offset0:33 offset1:44
	;; [unrolled: 1-line block ×5, first 2 shown]
	s_waitcnt lgkmcnt(4)
	v_pk_add_f32 v[32:33], v[10:11], v[12:13]
	v_mad_u64_u32 v[6:7], s[0:1], v0, s0, v[4:5]
	v_pk_add_f32 v[32:33], v[32:33], v[14:15]
	s_mov_b32 s0, 0xbf0a6770
	s_waitcnt lgkmcnt(3)
	v_pk_add_f32 v[32:33], v[32:33], v[16:17]
	s_waitcnt lgkmcnt(0)
	v_pk_add_f32 v[44:45], v[30:31], v[12:13]
	v_pk_add_f32 v[32:33], v[32:33], v[18:19]
	s_mov_b32 s1, 0x3f575c64
	v_pk_add_f32 v[32:33], v[32:33], v[20:21]
	s_mov_b32 s34, s1
	;; [unrolled: 2-line block ×3, first 2 shown]
	v_pk_add_f32 v[32:33], v[32:33], v[24:25]
	v_pk_add_f32 v[52:53], v[26:27], v[16:17]
	;; [unrolled: 1-line block ×3, first 2 shown]
	v_pk_add_f32 v[26:27], v[16:17], v[26:27] neg_lo:[0,1] neg_hi:[0,1]
	v_pk_add_f32 v[32:33], v[32:33], v[28:29]
	v_pk_add_f32 v[46:47], v[28:29], v[14:15]
	;; [unrolled: 1-line block ×3, first 2 shown]
	v_pk_add_f32 v[30:31], v[12:13], v[30:31] neg_lo:[0,1] neg_hi:[0,1]
	v_mov_b32_e32 v13, v45
	v_mov_b32_e32 v45, v30
	;; [unrolled: 1-line block ×3, first 2 shown]
	v_pk_mul_f32 v[16:17], v[44:45], s[34:35]
	v_pk_add_f32 v[28:29], v[14:15], v[28:29] neg_lo:[0,1] neg_hi:[0,1]
	v_pk_add_f32 v[54:55], v[24:25], v[18:19]
	v_pk_add_f32 v[32:33], v[18:19], v[24:25] neg_lo:[0,1] neg_hi:[0,1]
	v_pk_fma_f32 v[18:19], v[12:13], s[0:1], v[16:17] neg_lo:[1,0,0] neg_hi:[1,0,0]
	v_pk_fma_f32 v[14:15], v[12:13], s[0:1], v[16:17]
	s_mov_b32 s6, 0xbf68dda4
	v_mov_b32_e32 v19, v15
	s_mov_b32 s7, 0x3ed4b147
	v_pk_add_f32 v[24:25], v[10:11], v[18:19]
	v_mov_b32_e32 v19, v47
	v_mov_b32_e32 v47, v28
	s_mov_b32 s44, s7
	s_mov_b32 s45, s6
	v_pk_add_f32 v[56:57], v[22:23], v[20:21]
	v_pk_add_f32 v[38:39], v[20:21], v[22:23] neg_lo:[0,1] neg_hi:[0,1]
	v_mov_b32_e32 v18, v29
	v_pk_mul_f32 v[22:23], v[46:47], s[44:45]
	s_mov_b32 s8, 0xbf7d64f0
	v_pk_fma_f32 v[28:29], v[18:19], s[6:7], v[22:23] neg_lo:[1,0,0] neg_hi:[1,0,0]
	v_pk_fma_f32 v[20:21], v[18:19], s[6:7], v[22:23]
	s_mov_b32 s9, 0xbe11bafb
	v_mov_b32_e32 v29, v21
	v_pk_add_f32 v[30:31], v[28:29], v[24:25]
	v_mov_b32_e32 v25, v53
	v_mov_b32_e32 v53, v26
	s_mov_b32 s28, s9
	s_mov_b32 s29, s8
	v_mov_b32_e32 v24, v27
	v_pk_mul_f32 v[28:29], v[52:53], s[28:29]
	s_mov_b32 s10, 0xbf4178ce
	v_pk_fma_f32 v[34:35], v[24:25], s[8:9], v[28:29] neg_lo:[1,0,0] neg_hi:[1,0,0]
	v_pk_fma_f32 v[26:27], v[24:25], s[8:9], v[28:29]
	s_mov_b32 s11, 0xbf27a4f4
	v_mov_b32_e32 v35, v27
	v_pk_add_f32 v[36:37], v[34:35], v[30:31]
	v_mov_b32_e32 v31, v55
	v_mov_b32_e32 v55, v32
	s_mov_b32 s30, s11
	s_mov_b32 s31, s10
	;; [unrolled: 12-line block ×3, first 2 shown]
	v_mov_b32_e32 v36, v39
	v_pk_mul_f32 v[40:41], v[56:57], s[36:37]
	s_nop 0
	v_pk_fma_f32 v[64:65], v[36:37], s[18:19], v[40:41] neg_lo:[1,0,0] neg_hi:[1,0,0]
	v_pk_fma_f32 v[38:39], v[36:37], s[18:19], v[40:41]
	s_barrier
	v_mov_b32_e32 v65, v39
	v_pk_add_f32 v[58:59], v[64:65], v[58:59]
	ds_write2_b64 v6, v[42:43], v[58:59] offset1:1
	v_pk_mul_f32 v[42:43], v[44:45], s[44:45]
	v_pk_mul_f32 v[66:67], v[46:47], s[30:31]
	v_pk_fma_f32 v[58:59], v[12:13], s[6:7], v[42:43] neg_lo:[1,0,0] neg_hi:[1,0,0]
	v_pk_fma_f32 v[64:65], v[12:13], s[6:7], v[42:43]
	v_pk_fma_f32 v[68:69], v[18:19], s[10:11], v[66:67] neg_lo:[1,0,0] neg_hi:[1,0,0]
	v_mov_b32_e32 v59, v65
	v_pk_fma_f32 v[70:71], v[18:19], s[10:11], v[66:67]
	s_mov_b32 s20, 0x3e903f40
	v_pk_add_f32 v[58:59], v[10:11], v[58:59]
	v_mov_b32_e32 v69, v71
	s_mov_b32 s46, s19
	s_mov_b32 s47, s20
	v_pk_add_f32 v[58:59], v[68:69], v[58:59]
	s_mov_b32 s21, s19
	v_pk_mul_f32 v[68:69], v[52:53], s[46:47]
	s_mov_b32 s22, 0x3f7d64f0
	v_pk_fma_f32 v[72:73], v[24:25], s[20:21], v[68:69] neg_lo:[1,0,0] neg_hi:[1,0,0]
	v_pk_fma_f32 v[74:75], v[24:25], s[20:21], v[68:69]
	s_mov_b32 s42, s9
	v_mov_b32_e32 v73, v75
	s_mov_b32 s43, s22
	v_pk_add_f32 v[58:59], v[72:73], v[58:59]
	s_mov_b32 s23, s9
	v_pk_mul_f32 v[72:73], v[54:55], s[42:43]
	s_mov_b32 s24, 0x3f0a6770
	v_pk_fma_f32 v[76:77], v[30:31], s[22:23], v[72:73] neg_lo:[1,0,0] neg_hi:[1,0,0]
	v_pk_fma_f32 v[78:79], v[30:31], s[22:23], v[72:73]
	s_mov_b32 s38, s1
	v_mov_b32_e32 v77, v79
	s_mov_b32 s39, s24
	v_pk_add_f32 v[58:59], v[76:77], v[58:59]
	s_mov_b32 s25, s1
	v_pk_mul_f32 v[76:77], v[56:57], s[38:39]
	v_pk_mul_f32 v[88:89], v[46:47], s[46:47]
	v_pk_fma_f32 v[80:81], v[36:37], s[24:25], v[76:77] neg_lo:[1,0,0] neg_hi:[1,0,0]
	v_pk_fma_f32 v[82:83], v[36:37], s[24:25], v[76:77]
	v_pk_fma_f32 v[90:91], v[18:19], s[20:21], v[88:89] neg_lo:[1,0,0] neg_hi:[1,0,0]
	v_mov_b32_e32 v81, v83
	v_pk_add_f32 v[58:59], v[80:81], v[58:59]
	v_pk_mul_f32 v[80:81], v[44:45], s[28:29]
	v_pk_fma_f32 v[92:93], v[18:19], s[20:21], v[88:89]
	v_pk_fma_f32 v[84:85], v[12:13], s[8:9], v[80:81] neg_lo:[1,0,0] neg_hi:[1,0,0]
	v_pk_fma_f32 v[86:87], v[12:13], s[8:9], v[80:81]
	s_mov_b32 s26, 0x3f68dda4
	v_mov_b32_e32 v85, v87
	v_pk_add_f32 v[84:85], v[10:11], v[84:85]
	v_mov_b32_e32 v91, v93
	s_mov_b32 s40, s7
	s_mov_b32 s41, s26
	v_pk_add_f32 v[84:85], v[90:91], v[84:85]
	s_mov_b32 s27, s7
	v_pk_mul_f32 v[90:91], v[52:53], s[40:41]
	v_pk_mul_f32 v[106:107], v[46:47], s[42:43]
	v_pk_fma_f32 v[94:95], v[24:25], s[26:27], v[90:91] neg_lo:[1,0,0] neg_hi:[1,0,0]
	v_pk_fma_f32 v[96:97], v[24:25], s[26:27], v[90:91]
	v_pk_fma_f32 v[108:109], v[18:19], s[22:23], v[106:107] neg_lo:[1,0,0] neg_hi:[1,0,0]
	v_mov_b32_e32 v95, v97
	v_pk_add_f32 v[84:85], v[94:95], v[84:85]
	v_pk_mul_f32 v[94:95], v[54:55], s[34:35]
	v_pk_fma_f32 v[110:111], v[18:19], s[22:23], v[106:107]
	v_pk_fma_f32 v[98:99], v[30:31], s[0:1], v[94:95] neg_lo:[1,0,0] neg_hi:[1,0,0]
	v_pk_fma_f32 v[100:101], v[30:31], s[0:1], v[94:95]
	v_mov_b32_e32 v109, v111
	v_mov_b32_e32 v99, v101
	v_pk_add_f32 v[84:85], v[98:99], v[84:85]
	v_pk_mul_f32 v[98:99], v[56:57], s[30:31]
	v_pk_mul_f32 v[46:47], v[46:47], s[38:39]
	v_pk_fma_f32 v[102:103], v[36:37], s[10:11], v[98:99] neg_lo:[1,0,0] neg_hi:[1,0,0]
	v_pk_fma_f32 v[104:105], v[36:37], s[10:11], v[98:99]
	v_pk_fma_f32 v[126:127], v[18:19], s[24:25], v[46:47] neg_lo:[1,0,0] neg_hi:[1,0,0]
	v_mov_b32_e32 v103, v105
	v_pk_add_f32 v[84:85], v[102:103], v[84:85]
	ds_write2_b64 v6, v[58:59], v[84:85] offset0:2 offset1:3
	v_pk_mul_f32 v[58:59], v[44:45], s[30:31]
	v_pk_mul_f32 v[44:45], v[44:45], s[36:37]
	v_pk_fma_f32 v[84:85], v[12:13], s[10:11], v[58:59] neg_lo:[1,0,0] neg_hi:[1,0,0]
	v_pk_fma_f32 v[102:103], v[12:13], s[10:11], v[58:59]
	v_pk_fma_f32 v[124:125], v[12:13], s[18:19], v[44:45]
	v_mov_b32_e32 v85, v103
	v_pk_add_f32 v[84:85], v[10:11], v[84:85]
	v_pk_fma_f32 v[128:129], v[18:19], s[24:25], v[46:47]
	v_pk_add_f32 v[84:85], v[108:109], v[84:85]
	v_pk_mul_f32 v[108:109], v[52:53], s[34:35]
	v_mov_b32_e32 v127, v129
	v_pk_fma_f32 v[112:113], v[24:25], s[0:1], v[108:109] neg_lo:[1,0,0] neg_hi:[1,0,0]
	v_pk_fma_f32 v[114:115], v[24:25], s[0:1], v[108:109]
	v_pk_mul_f32 v[52:53], v[52:53], s[30:31]
	v_mov_b32_e32 v113, v115
	v_pk_add_f32 v[84:85], v[112:113], v[84:85]
	v_pk_mul_f32 v[112:113], v[54:55], s[36:37]
	v_pk_fma_f32 v[130:131], v[24:25], s[10:11], v[52:53]
	v_pk_fma_f32 v[116:117], v[30:31], s[18:19], v[112:113] neg_lo:[1,0,0] neg_hi:[1,0,0]
	v_pk_fma_f32 v[118:119], v[30:31], s[18:19], v[112:113]
	v_pk_mul_f32 v[54:55], v[54:55], s[40:41]
	v_mov_b32_e32 v117, v119
	v_pk_add_f32 v[84:85], v[116:117], v[84:85]
	v_pk_mul_f32 v[116:117], v[56:57], s[40:41]
	v_pk_fma_f32 v[46:47], v[18:19], s[24:25], v[46:47] neg_lo:[0,0,1] neg_hi:[0,0,1]
	v_pk_fma_f32 v[120:121], v[36:37], s[26:27], v[116:117] neg_lo:[1,0,0] neg_hi:[1,0,0]
	v_pk_fma_f32 v[122:123], v[36:37], s[26:27], v[116:117]
	v_pk_fma_f32 v[132:133], v[30:31], s[26:27], v[54:55]
	v_mov_b32_e32 v121, v123
	v_pk_add_f32 v[84:85], v[120:121], v[84:85]
	v_pk_fma_f32 v[120:121], v[12:13], s[18:19], v[44:45] neg_lo:[1,0,0] neg_hi:[1,0,0]
	v_mov_b32_e32 v129, v47
	v_mov_b32_e32 v121, v125
	v_pk_add_f32 v[120:121], v[10:11], v[120:121]
	v_pk_fma_f32 v[46:47], v[24:25], s[10:11], v[52:53] neg_lo:[0,0,1] neg_hi:[0,0,1]
	v_pk_add_f32 v[120:121], v[126:127], v[120:121]
	v_pk_fma_f32 v[126:127], v[24:25], s[10:11], v[52:53] neg_lo:[1,0,0] neg_hi:[1,0,0]
	v_pk_mul_f32 v[56:57], v[56:57], s[28:29]
	v_mov_b32_e32 v127, v131
	v_pk_add_f32 v[120:121], v[126:127], v[120:121]
	v_pk_fma_f32 v[126:127], v[30:31], s[26:27], v[54:55] neg_lo:[1,0,0] neg_hi:[1,0,0]
	v_mov_b32_e32 v131, v47
	v_mov_b32_e32 v127, v133
	v_pk_fma_f32 v[46:47], v[30:31], s[26:27], v[54:55] neg_lo:[0,0,1] neg_hi:[0,0,1]
	v_pk_add_f32 v[120:121], v[126:127], v[120:121]
	v_pk_fma_f32 v[126:127], v[36:37], s[8:9], v[56:57] neg_lo:[1,0,0] neg_hi:[1,0,0]
	v_pk_fma_f32 v[134:135], v[36:37], s[8:9], v[56:57]
	v_mov_b32_e32 v133, v47
	v_pk_fma_f32 v[46:47], v[36:37], s[8:9], v[56:57] neg_lo:[0,0,1] neg_hi:[0,0,1]
	v_mov_b32_e32 v127, v135
	v_pk_fma_f32 v[44:45], v[12:13], s[18:19], v[44:45] neg_lo:[0,0,1] neg_hi:[0,0,1]
	;; [unrolled: 2-line block ×3, first 2 shown]
	v_mov_b32_e32 v125, v45
	v_mov_b32_e32 v103, v47
	v_pk_fma_f32 v[52:53], v[18:19], s[22:23], v[106:107] neg_lo:[0,0,1] neg_hi:[0,0,1]
	v_pk_add_f32 v[44:45], v[10:11], v[124:125]
	v_pk_add_f32 v[46:47], v[10:11], v[102:103]
	v_mov_b32_e32 v111, v53
	v_pk_fma_f32 v[52:53], v[24:25], s[0:1], v[108:109] neg_lo:[0,0,1] neg_hi:[0,0,1]
	v_pk_add_f32 v[44:45], v[128:129], v[44:45]
	v_pk_add_f32 v[46:47], v[110:111], v[46:47]
	;; [unrolled: 4-line block ×4, first 2 shown]
	v_mov_b32_e32 v123, v53
	v_pk_add_f32 v[44:45], v[134:135], v[44:45]
	v_pk_add_f32 v[46:47], v[122:123], v[46:47]
	ds_write2_b64 v6, v[44:45], v[46:47] offset0:6 offset1:7
	v_pk_fma_f32 v[46:47], v[18:19], s[20:21], v[88:89] neg_lo:[0,0,1] neg_hi:[0,0,1]
	v_pk_fma_f32 v[44:45], v[12:13], s[8:9], v[80:81] neg_lo:[0,0,1] neg_hi:[0,0,1]
	v_mov_b32_e32 v93, v47
	v_pk_fma_f32 v[46:47], v[24:25], s[26:27], v[90:91] neg_lo:[0,0,1] neg_hi:[0,0,1]
	v_pk_fma_f32 v[42:43], v[12:13], s[6:7], v[42:43] neg_lo:[0,0,1] neg_hi:[0,0,1]
	v_mov_b32_e32 v97, v47
	;; [unrolled: 3-line block ×3, first 2 shown]
	v_pk_fma_f32 v[46:47], v[36:37], s[10:11], v[98:99] neg_lo:[0,0,1] neg_hi:[0,0,1]
	v_mov_b32_e32 v87, v45
	v_mov_b32_e32 v105, v47
	;; [unrolled: 1-line block ×3, first 2 shown]
	v_pk_fma_f32 v[46:47], v[18:19], s[10:11], v[66:67] neg_lo:[0,0,1] neg_hi:[0,0,1]
	v_mov_b32_e32 v15, v13
	v_pk_fma_f32 v[12:13], v[18:19], s[6:7], v[22:23] neg_lo:[0,0,1] neg_hi:[0,0,1]
	v_pk_add_f32 v[44:45], v[10:11], v[86:87]
	v_pk_add_f32 v[42:43], v[10:11], v[64:65]
	v_mov_b32_e32 v71, v47
	v_pk_fma_f32 v[46:47], v[24:25], s[20:21], v[68:69] neg_lo:[0,0,1] neg_hi:[0,0,1]
	v_pk_add_f32 v[10:11], v[10:11], v[14:15]
	v_mov_b32_e32 v21, v13
	v_pk_fma_f32 v[12:13], v[24:25], s[8:9], v[28:29] neg_lo:[0,0,1] neg_hi:[0,0,1]
	v_pk_add_f32 v[44:45], v[92:93], v[44:45]
	v_pk_add_f32 v[42:43], v[70:71], v[42:43]
	v_mov_b32_e32 v75, v47
	v_pk_fma_f32 v[46:47], v[30:31], s[22:23], v[72:73] neg_lo:[0,0,1] neg_hi:[0,0,1]
	v_pk_add_f32 v[10:11], v[20:21], v[10:11]
	;; [unrolled: 7-line block ×3, first 2 shown]
	v_mov_b32_e32 v33, v13
	v_pk_fma_f32 v[12:13], v[36:37], s[18:19], v[40:41] neg_lo:[0,0,1] neg_hi:[0,0,1]
	v_pk_add_f32 v[44:45], v[100:101], v[44:45]
	v_pk_add_f32 v[42:43], v[78:79], v[42:43]
	v_mov_b32_e32 v83, v47
	v_pk_add_f32 v[10:11], v[32:33], v[10:11]
	v_mov_b32_e32 v39, v13
	v_mul_lo_u32 v18, v0, 10
	v_mov_b32_e32 v19, v3
	v_pk_add_f32 v[120:121], v[126:127], v[120:121]
	v_pk_add_f32 v[44:45], v[104:105], v[44:45]
	;; [unrolled: 1-line block ×4, first 2 shown]
	v_lshl_add_u64 v[68:69], v[18:19], 3, s[48:49]
	ds_write2_b64 v6, v[84:85], v[120:121] offset0:4 offset1:5
	ds_write2_b64 v6, v[44:45], v[42:43] offset0:8 offset1:9
	ds_write_b64 v6, v[10:11] offset:80
	s_waitcnt lgkmcnt(0)
	s_barrier
	ds_read_b64 v[6:7], v9
	ds_read2_b64 v[10:13], v4 offset0:11 offset1:22
	ds_read2_b64 v[14:17], v4 offset0:33 offset1:44
	ds_read2_b32 v[34:35], v4 offset0:110 offset1:111
	global_load_dwordx4 v[18:21], v[68:69], off offset:48
	global_load_dwordx4 v[22:25], v[68:69], off offset:32
	;; [unrolled: 1-line block ×3, first 2 shown]
	global_load_dwordx4 v[30:33], v[68:69], off
	s_add_i32 s33, 0, 0x2998
	s_waitcnt vmcnt(1) lgkmcnt(1)
	v_mul_f32_e32 v42, v27, v14
	s_waitcnt vmcnt(0)
	v_mul_f32_e32 v3, v31, v11
	v_fma_f32 v66, v30, v10, -v3
	v_mul_f32_e32 v64, v31, v10
	v_mul_f32_e32 v3, v33, v13
	;; [unrolled: 1-line block ×3, first 2 shown]
	v_fmac_f32_e32 v64, v30, v11
	v_fma_f32 v56, v32, v12, -v3
	v_fmac_f32_e32 v52, v32, v13
	ds_read2_b64 v[10:13], v4 offset0:66 offset1:77
	v_mul_f32_e32 v3, v27, v15
	v_fma_f32 v46, v26, v14, -v3
	v_mul_f32_e32 v3, v29, v17
	v_mul_f32_e32 v36, v29, v16
	v_mov_b32_e32 v14, v25
	v_fmac_f32_e32 v42, v26, v15
	v_fma_f32 v38, v28, v16, -v3
	v_fmac_f32_e32 v36, v28, v17
	s_waitcnt lgkmcnt(1)
	v_mul_f32_e32 v3, v35, v23
	v_mul_f32_e32 v28, v23, v34
	s_waitcnt lgkmcnt(0)
	v_pk_mul_f32 v[14:15], v[10:11], v[14:15] op_sel:[1,0] op_sel_hi:[0,1]
	v_fma_f32 v30, v22, v34, -v3
	v_fmac_f32_e32 v28, v35, v22
	v_pk_fma_f32 v[34:35], v[10:11], v[24:25], v[14:15] neg_lo:[0,0,1] neg_hi:[0,0,1]
	v_pk_mul_f32 v[14:15], v[10:11], v[24:25] op_sel:[1,0] op_sel_hi:[0,1]
	v_mov_b32_e32 v14, v15
	v_pk_fma_f32 v[32:33], v[10:11], v[24:25], v[14:15] op_sel:[1,0,0] op_sel_hi:[0,1,1]
	v_mov_b32_e32 v10, v19
	v_pk_mul_f32 v[10:11], v[12:13], v[10:11] op_sel:[1,0] op_sel_hi:[0,1]
	v_pk_fma_f32 v[44:45], v[12:13], v[18:19], v[10:11] neg_lo:[0,0,1] neg_hi:[0,0,1]
	v_pk_mul_f32 v[10:11], v[12:13], v[18:19] op_sel:[1,0] op_sel_hi:[0,1]
	v_mov_b32_e32 v10, v11
	v_pk_fma_f32 v[40:41], v[12:13], v[18:19], v[10:11] op_sel:[1,0,0] op_sel_hi:[0,1,1]
	ds_read2_b64 v[10:13], v4 offset0:88 offset1:99
	v_mov_b32_e32 v14, v21
	s_waitcnt lgkmcnt(0)
	v_pk_mul_f32 v[14:15], v[10:11], v[14:15] op_sel:[1,0] op_sel_hi:[0,1]
	v_pk_fma_f32 v[58:59], v[10:11], v[20:21], v[14:15] neg_lo:[0,0,1] neg_hi:[0,0,1]
	v_pk_mul_f32 v[14:15], v[10:11], v[20:21] op_sel:[1,0] op_sel_hi:[0,1]
	v_mov_b32_e32 v14, v15
	v_pk_fma_f32 v[54:55], v[10:11], v[20:21], v[14:15] op_sel:[1,0,0] op_sel_hi:[0,1,1]
	global_load_dwordx4 v[14:17], v[68:69], off offset:64
	s_waitcnt vmcnt(0)
	v_mov_b32_e32 v10, v15
	v_pk_mul_f32 v[10:11], v[12:13], v[10:11] op_sel:[1,0] op_sel_hi:[0,1]
	v_pk_fma_f32 v[78:79], v[12:13], v[14:15], v[10:11] neg_lo:[0,0,1] neg_hi:[0,0,1]
	v_pk_mul_f32 v[10:11], v[12:13], v[14:15] op_sel:[1,0] op_sel_hi:[0,1]
	v_mov_b32_e32 v10, v11
	v_pk_fma_f32 v[76:77], v[12:13], v[14:15], v[10:11] op_sel:[1,0,0] op_sel_hi:[0,1,1]
	ds_read_b64 v[10:11], v4 offset:880
	v_mov_b32_e32 v12, v17
	v_mul_lo_u32 v14, v0, v8
	v_and_b32_e32 v3, 63, v14
	v_lshl_add_u32 v3, v3, 3, 0
	s_waitcnt lgkmcnt(0)
	v_pk_mul_f32 v[12:13], v[10:11], v[12:13] op_sel:[1,0] op_sel_hi:[0,1]
	v_pk_fma_f32 v[86:87], v[10:11], v[16:17], v[12:13] neg_lo:[0,0,1] neg_hi:[0,0,1]
	v_pk_mul_f32 v[12:13], v[10:11], v[16:17] op_sel:[1,0] op_sel_hi:[0,1]
	v_mov_b32_e32 v12, v13
	v_pk_fma_f32 v[80:81], v[10:11], v[16:17], v[12:13] op_sel:[1,0,0] op_sel_hi:[0,1,1]
	ds_read_b64 v[10:11], v3 offset:10648
	v_lshrrev_b32_e32 v3, 3, v14
	v_and_b32_e32 v3, 0x1f8, v3
	v_add_u32_e32 v3, s33, v3
	ds_read_b64 v[12:13], v3 offset:512
	v_mul_lo_u32 v15, v8, 11
	v_add_u32_e32 v8, v14, v15
	s_waitcnt lgkmcnt(0)
	v_mul_f32_e32 v3, v11, v13
	v_fma_f32 v9, v10, v12, -v3
	v_lshrrev_b32_e32 v3, 9, v14
	v_and_b32_e32 v3, 0x1f8, v3
	v_mul_f32_e32 v13, v10, v13
	v_add_u32_e32 v3, s33, v3
	v_fmac_f32_e32 v13, v11, v12
	ds_read_b64 v[10:11], v3 offset:1024
	s_waitcnt lgkmcnt(0)
	v_mul_f32_e32 v3, v13, v11
	v_fma_f32 v3, v10, v9, -v3
	v_mul_f32_e32 v9, v9, v11
	v_lshrrev_b32_e32 v11, 3, v8
	v_fmac_f32_e32 v9, v10, v13
	v_and_b32_e32 v10, 63, v8
	v_and_b32_e32 v11, 0x1f8, v11
	v_lshl_add_u32 v10, v10, 3, 0
	v_add_u32_e32 v12, s33, v11
	ds_read_b64 v[10:11], v10 offset:10648
	ds_read_b64 v[12:13], v12 offset:512
	s_waitcnt lgkmcnt(0)
	v_mul_f32_e32 v14, v10, v12
	v_fma_f32 v14, -v11, v13, v14
	v_pk_mul_f32 v[10:11], v[10:11], v[12:13] op_sel:[1,0] op_sel_hi:[0,1]
	v_add_f32_e32 v12, v10, v11
	v_lshrrev_b32_e32 v10, 9, v8
	v_and_b32_e32 v10, 0x1f8, v10
	v_add_u32_e32 v10, s33, v10
	ds_read_b64 v[10:11], v10 offset:1024
	v_add_u32_e32 v8, v8, v15
	s_waitcnt lgkmcnt(0)
	v_mul_f32_e32 v13, v12, v11
	v_mul_f32_e32 v84, v14, v11
	v_lshrrev_b32_e32 v11, 3, v8
	v_fma_f32 v82, v10, v14, -v13
	v_fmac_f32_e32 v84, v10, v12
	v_and_b32_e32 v10, 63, v8
	v_and_b32_e32 v11, 0x1f8, v11
	v_lshl_add_u32 v10, v10, 3, 0
	v_add_u32_e32 v12, s33, v11
	ds_read_b64 v[10:11], v10 offset:10648
	ds_read_b64 v[12:13], v12 offset:512
	s_waitcnt lgkmcnt(0)
	v_mul_f32_e32 v14, v10, v12
	v_fma_f32 v14, -v11, v13, v14
	v_pk_mul_f32 v[10:11], v[10:11], v[12:13] op_sel:[1,0] op_sel_hi:[0,1]
	v_add_f32_e32 v12, v10, v11
	v_lshrrev_b32_e32 v10, 9, v8
	v_and_b32_e32 v10, 0x1f8, v10
	v_add_u32_e32 v10, s33, v10
	ds_read_b64 v[10:11], v10 offset:1024
	v_add_u32_e32 v8, v8, v15
	s_waitcnt lgkmcnt(0)
	v_mul_f32_e32 v13, v12, v11
	v_mul_f32_e32 v74, v14, v11
	v_lshrrev_b32_e32 v11, 3, v8
	v_fma_f32 v72, v10, v14, -v13
	;; [unrolled: 22-line block ×7, first 2 shown]
	v_fmac_f32_e32 v22, v10, v12
	v_and_b32_e32 v10, 63, v8
	v_and_b32_e32 v11, 0x1f8, v11
	v_lshl_add_u32 v10, v10, 3, 0
	v_add_u32_e32 v12, s33, v11
	ds_read_b64 v[10:11], v10 offset:10648
	ds_read_b64 v[12:13], v12 offset:512
	s_waitcnt lgkmcnt(0)
	v_mul_f32_e32 v14, v10, v12
	v_fma_f32 v14, -v11, v13, v14
	v_pk_mul_f32 v[10:11], v[10:11], v[12:13] op_sel:[1,0] op_sel_hi:[0,1]
	v_add_f32_e32 v12, v10, v11
	v_lshrrev_b32_e32 v10, 9, v8
	v_and_b32_e32 v10, 0x1f8, v10
	v_add_u32_e32 v10, s33, v10
	ds_read_b64 v[10:11], v10 offset:1024
	s_waitcnt lgkmcnt(0)
	v_mul_f32_e32 v13, v12, v11
	v_fma_f32 v16, v10, v14, -v13
	v_mul_f32_e32 v18, v14, v11
	v_add_u32_e32 v14, v8, v15
	v_fmac_f32_e32 v18, v10, v12
	v_lshrrev_b32_e32 v10, 3, v14
	v_and_b32_e32 v8, 63, v14
	v_and_b32_e32 v10, 0x1f8, v10
	v_lshl_add_u32 v8, v8, 3, 0
	v_add_u32_e32 v12, s33, v10
	ds_read_b64 v[10:11], v8 offset:10648
	ds_read_b64 v[12:13], v12 offset:512
	s_waitcnt lgkmcnt(0)
	v_mul_f32_e32 v8, v10, v12
	v_fma_f32 v17, -v11, v13, v8
	v_lshrrev_b32_e32 v8, 9, v14
	v_and_b32_e32 v8, 0x1f8, v8
	v_pk_mul_f32 v[10:11], v[10:11], v[12:13] op_sel:[1,0] op_sel_hi:[0,1]
	v_add_u32_e32 v8, s33, v8
	v_add_f32_e32 v13, v10, v11
	ds_read_b64 v[10:11], v8 offset:1024
	s_waitcnt lgkmcnt(0)
	v_mul_f32_e32 v12, v17, v11
	v_mul_f32_e32 v8, v13, v11
	v_fmac_f32_e32 v12, v10, v13
	v_add_u32_e32 v13, v14, v15
	v_lshrrev_b32_e32 v11, 3, v13
	v_fma_f32 v8, v10, v17, -v8
	v_and_b32_e32 v10, 63, v13
	v_and_b32_e32 v11, 0x1f8, v11
	v_lshl_add_u32 v10, v10, 3, 0
	v_add_u32_e32 v14, s33, v11
	ds_read_b64 v[10:11], v10 offset:10648
	ds_read_b64 v[14:15], v14 offset:512
	s_waitcnt lgkmcnt(0)
	v_mul_f32_e32 v17, v10, v14
	v_fma_f32 v17, -v11, v15, v17
	v_pk_mul_f32 v[10:11], v[10:11], v[14:15] op_sel:[1,0] op_sel_hi:[0,1]
	v_add_f32_e32 v11, v10, v11
	v_lshrrev_b32_e32 v10, 9, v13
	v_and_b32_e32 v10, 0x1f8, v10
	v_add_u32_e32 v10, s33, v10
	ds_read_b64 v[88:89], v10 offset:1024
	v_add_f32_e32 v13, v64, v7
	v_add_f32_e32 v13, v13, v52
	;; [unrolled: 1-line block ×4, first 2 shown]
	s_waitcnt lgkmcnt(0)
	v_mul_f32_e32 v14, v17, v89
	v_mul_f32_e32 v10, v11, v89
	v_fmac_f32_e32 v14, v88, v11
	v_add_f32_e32 v11, v66, v6
	v_add_f32_e32 v11, v11, v56
	;; [unrolled: 1-line block ×11, first 2 shown]
	v_fma_f32 v10, v88, v17, -v10
	v_add_f32_e32 v13, v13, v54
	v_add_f32_e32 v11, v11, v78
	v_pk_add_f32 v[88:89], v[66:67], v[86:87]
	v_pk_add_f32 v[66:67], v[66:67], v[86:87] neg_lo:[0,1] neg_hi:[0,1]
	v_add_f32_e32 v13, v13, v76
	v_add_f32_e32 v11, v11, v86
	v_mov_b32_e32 v89, v66
	v_pk_add_f32 v[86:87], v[64:65], v[80:81] neg_lo:[0,1] neg_hi:[0,1]
	v_pk_add_f32 v[66:67], v[64:65], v[80:81]
	v_add_f32_e32 v13, v13, v80
	v_mov_b32_e32 v64, v86
	v_mov_b32_e32 v65, v66
	v_pk_mul_f32 v[80:81], v[88:89], s[34:35]
	v_mul_f32_e32 v15, v13, v9
	v_pk_fma_f32 v[90:91], v[86:87], s[0:1], v[80:81] neg_lo:[1,0,0] neg_hi:[1,0,0]
	v_pk_fma_f32 v[66:67], v[64:65], s[0:1], v[80:81]
	s_nop 0
	v_mov_b32_e32 v91, v67
	v_pk_add_f32 v[92:93], v[90:91], v[6:7]
	v_pk_add_f32 v[90:91], v[56:57], v[78:79]
	v_pk_add_f32 v[56:57], v[56:57], v[78:79] neg_lo:[0,1] neg_hi:[0,1]
	v_pk_add_f32 v[78:79], v[52:53], v[76:77] neg_lo:[0,1] neg_hi:[0,1]
	v_mov_b32_e32 v91, v56
	v_pk_add_f32 v[56:57], v[52:53], v[76:77]
	v_mov_b32_e32 v52, v78
	v_mov_b32_e32 v53, v56
	v_pk_mul_f32 v[76:77], v[90:91], s[44:45]
	s_barrier
	v_pk_fma_f32 v[94:95], v[78:79], s[6:7], v[76:77] neg_lo:[1,0,0] neg_hi:[1,0,0]
	v_pk_fma_f32 v[56:57], v[52:53], s[6:7], v[76:77]
	s_nop 0
	v_mov_b32_e32 v95, v57
	v_pk_add_f32 v[94:95], v[94:95], v[92:93]
	v_pk_add_f32 v[92:93], v[46:47], v[58:59]
	v_pk_add_f32 v[46:47], v[46:47], v[58:59] neg_lo:[0,1] neg_hi:[0,1]
	v_pk_add_f32 v[58:59], v[42:43], v[54:55] neg_lo:[0,1] neg_hi:[0,1]
	v_mov_b32_e32 v93, v46
	v_pk_add_f32 v[46:47], v[42:43], v[54:55]
	v_mov_b32_e32 v42, v58
	v_mov_b32_e32 v43, v46
	v_pk_mul_f32 v[54:55], v[92:93], s[28:29]
	v_pk_mul_f32 v[118:119], v[90:91], s[46:47]
	v_pk_fma_f32 v[96:97], v[58:59], s[8:9], v[54:55] neg_lo:[1,0,0] neg_hi:[1,0,0]
	v_pk_fma_f32 v[46:47], v[42:43], s[8:9], v[54:55]
	v_pk_fma_f32 v[120:121], v[78:79], s[20:21], v[118:119] neg_lo:[1,0,0] neg_hi:[1,0,0]
	v_mov_b32_e32 v97, v47
	v_pk_add_f32 v[96:97], v[96:97], v[94:95]
	v_pk_add_f32 v[94:95], v[38:39], v[44:45]
	v_pk_add_f32 v[38:39], v[38:39], v[44:45] neg_lo:[0,1] neg_hi:[0,1]
	v_pk_add_f32 v[44:45], v[36:37], v[40:41] neg_lo:[0,1] neg_hi:[0,1]
	v_mov_b32_e32 v95, v38
	v_pk_add_f32 v[38:39], v[36:37], v[40:41]
	v_mov_b32_e32 v36, v44
	v_mov_b32_e32 v37, v38
	v_pk_mul_f32 v[40:41], v[94:95], s[30:31]
	s_nop 0
	v_pk_fma_f32 v[98:99], v[44:45], s[10:11], v[40:41] neg_lo:[1,0,0] neg_hi:[1,0,0]
	v_pk_fma_f32 v[38:39], v[36:37], s[10:11], v[40:41]
	s_nop 0
	v_mov_b32_e32 v99, v39
	v_pk_add_f32 v[98:99], v[98:99], v[96:97]
	v_pk_add_f32 v[96:97], v[30:31], v[34:35]
	v_pk_add_f32 v[30:31], v[30:31], v[34:35] neg_lo:[0,1] neg_hi:[0,1]
	v_pk_add_f32 v[34:35], v[28:29], v[32:33] neg_lo:[0,1] neg_hi:[0,1]
	v_mov_b32_e32 v97, v30
	v_pk_add_f32 v[30:31], v[28:29], v[32:33]
	v_mov_b32_e32 v28, v34
	v_mov_b32_e32 v29, v30
	v_pk_mul_f32 v[32:33], v[96:97], s[36:37]
	s_nop 0
	v_pk_fma_f32 v[100:101], v[34:35], s[18:19], v[32:33] neg_lo:[1,0,0] neg_hi:[1,0,0]
	v_pk_fma_f32 v[30:31], v[28:29], s[18:19], v[32:33]
	s_nop 0
	v_mov_b32_e32 v101, v31
	v_pk_add_f32 v[100:101], v[100:101], v[98:99]
	v_mul_f32_e32 v99, v11, v9
	v_pk_mul_f32 v[102:103], v[100:101], v[84:85] op_sel_hi:[1,0]
	v_fma_f32 v98, v11, v3, -v15
	v_pk_fma_f32 v[84:85], v[100:101], v[82:83], v[102:103] op_sel:[0,0,1] op_sel_hi:[1,1,0] neg_lo:[0,0,1] neg_hi:[0,0,1]
	v_pk_fma_f32 v[82:83], v[100:101], v[82:83], v[102:103] op_sel:[0,0,1] op_sel_hi:[1,0,0]
	v_fmac_f32_e32 v99, v13, v3
	v_mov_b32_e32 v85, v83
	ds_write2_b64 v4, v[98:99], v[84:85] offset1:11
	v_pk_mul_f32 v[98:99], v[88:89], s[44:45]
	v_pk_mul_f32 v[100:101], v[90:91], s[30:31]
	v_pk_fma_f32 v[82:83], v[86:87], s[6:7], v[98:99] neg_lo:[1,0,0] neg_hi:[1,0,0]
	v_pk_fma_f32 v[84:85], v[64:65], s[6:7], v[98:99]
	v_pk_fma_f32 v[104:105], v[78:79], s[10:11], v[100:101] neg_lo:[1,0,0] neg_hi:[1,0,0]
	v_mov_b32_e32 v83, v85
	v_pk_add_f32 v[102:103], v[82:83], v[6:7]
	v_pk_fma_f32 v[82:83], v[52:53], s[10:11], v[100:101]
	s_nop 0
	v_mov_b32_e32 v105, v83
	v_pk_add_f32 v[106:107], v[104:105], v[102:103]
	v_pk_mul_f32 v[104:105], v[92:93], s[46:47]
	s_nop 0
	v_pk_fma_f32 v[108:109], v[58:59], s[20:21], v[104:105] neg_lo:[1,0,0] neg_hi:[1,0,0]
	v_pk_fma_f32 v[102:103], v[42:43], s[20:21], v[104:105]
	s_nop 0
	v_mov_b32_e32 v109, v103
	v_pk_add_f32 v[110:111], v[108:109], v[106:107]
	v_pk_mul_f32 v[108:109], v[94:95], s[42:43]
	s_nop 0
	v_pk_fma_f32 v[112:113], v[44:45], s[22:23], v[108:109] neg_lo:[1,0,0] neg_hi:[1,0,0]
	;; [unrolled: 7-line block ×3, first 2 shown]
	v_pk_fma_f32 v[110:111], v[28:29], s[24:25], v[112:113]
	s_nop 0
	v_mov_b32_e32 v117, v111
	v_pk_add_f32 v[114:115], v[116:117], v[114:115]
	v_pk_mul_f32 v[116:117], v[88:89], s[28:29]
	v_pk_mul_f32 v[74:75], v[114:115], v[74:75] op_sel_hi:[1,0]
	s_nop 0
	v_pk_fma_f32 v[130:131], v[114:115], v[72:73], v[74:75] op_sel:[0,0,1] op_sel_hi:[1,1,0] neg_lo:[0,0,1] neg_hi:[0,0,1]
	v_pk_fma_f32 v[72:73], v[114:115], v[72:73], v[74:75] op_sel:[0,0,1] op_sel_hi:[1,0,0]
	v_pk_fma_f32 v[114:115], v[64:65], s[8:9], v[116:117]
	v_mov_b32_e32 v131, v73
	v_pk_fma_f32 v[72:73], v[86:87], s[8:9], v[116:117] neg_lo:[1,0,0] neg_hi:[1,0,0]
	s_nop 0
	v_mov_b32_e32 v73, v115
	v_pk_add_f32 v[74:75], v[72:73], v[6:7]
	v_pk_fma_f32 v[72:73], v[52:53], s[20:21], v[118:119]
	s_nop 0
	v_mov_b32_e32 v121, v73
	v_pk_add_f32 v[122:123], v[120:121], v[74:75]
	v_pk_mul_f32 v[120:121], v[92:93], s[40:41]
	s_nop 0
	v_pk_fma_f32 v[124:125], v[58:59], s[26:27], v[120:121] neg_lo:[1,0,0] neg_hi:[1,0,0]
	v_pk_fma_f32 v[74:75], v[42:43], s[26:27], v[120:121]
	s_nop 0
	v_mov_b32_e32 v125, v75
	v_pk_add_f32 v[126:127], v[124:125], v[122:123]
	v_pk_mul_f32 v[124:125], v[94:95], s[34:35]
	s_nop 0
	v_pk_fma_f32 v[128:129], v[44:45], s[0:1], v[124:125] neg_lo:[1,0,0] neg_hi:[1,0,0]
	;; [unrolled: 7-line block ×3, first 2 shown]
	v_pk_fma_f32 v[126:127], v[28:29], s[10:11], v[128:129]
	s_nop 0
	v_mov_b32_e32 v135, v127
	v_pk_add_f32 v[132:133], v[134:135], v[132:133]
	s_nop 0
	v_pk_mul_f32 v[70:71], v[132:133], v[70:71] op_sel_hi:[1,0]
	s_nop 0
	v_pk_fma_f32 v[134:135], v[132:133], v[68:69], v[70:71] op_sel:[0,0,1] op_sel_hi:[1,1,0] neg_lo:[0,0,1] neg_hi:[0,0,1]
	v_pk_fma_f32 v[68:69], v[132:133], v[68:69], v[70:71] op_sel:[0,0,1] op_sel_hi:[1,0,0]
	v_pk_mul_f32 v[132:133], v[90:91], s[42:43]
	v_mov_b32_e32 v135, v69
	v_pk_mul_f32 v[68:69], v[88:89], s[30:31]
	ds_write2_b64 v4, v[130:131], v[134:135] offset0:22 offset1:33
	v_pk_fma_f32 v[70:71], v[86:87], s[10:11], v[68:69] neg_lo:[1,0,0] neg_hi:[1,0,0]
	v_pk_fma_f32 v[130:131], v[64:65], s[10:11], v[68:69]
	v_pk_fma_f32 v[134:135], v[78:79], s[22:23], v[132:133] neg_lo:[1,0,0] neg_hi:[1,0,0]
	v_mov_b32_e32 v71, v131
	v_pk_fma_f32 v[136:137], v[52:53], s[22:23], v[132:133]
	v_pk_add_f32 v[70:71], v[70:71], v[6:7]
	v_mov_b32_e32 v135, v137
	v_pk_add_f32 v[70:71], v[134:135], v[70:71]
	v_pk_mul_f32 v[134:135], v[92:93], s[34:35]
	v_pk_mul_f32 v[90:91], v[90:91], s[38:39]
	v_pk_fma_f32 v[138:139], v[58:59], s[0:1], v[134:135] neg_lo:[1,0,0] neg_hi:[1,0,0]
	v_pk_fma_f32 v[140:141], v[42:43], s[0:1], v[134:135]
	v_pk_fma_f32 v[78:79], v[78:79], s[24:25], v[90:91] neg_lo:[1,0,0] neg_hi:[1,0,0]
	v_mov_b32_e32 v139, v141
	v_pk_add_f32 v[70:71], v[138:139], v[70:71]
	v_pk_mul_f32 v[138:139], v[94:95], s[36:37]
	s_nop 0
	v_pk_fma_f32 v[142:143], v[44:45], s[18:19], v[138:139] neg_lo:[1,0,0] neg_hi:[1,0,0]
	v_pk_fma_f32 v[144:145], v[36:37], s[18:19], v[138:139]
	s_nop 0
	v_mov_b32_e32 v143, v145
	v_pk_add_f32 v[70:71], v[142:143], v[70:71]
	v_pk_mul_f32 v[142:143], v[96:97], s[40:41]
	s_nop 0
	v_pk_fma_f32 v[146:147], v[34:35], s[26:27], v[142:143] neg_lo:[1,0,0] neg_hi:[1,0,0]
	v_pk_fma_f32 v[148:149], v[28:29], s[26:27], v[142:143]
	s_nop 0
	v_mov_b32_e32 v147, v149
	v_pk_add_f32 v[70:71], v[146:147], v[70:71]
	s_nop 0
	v_pk_mul_f32 v[146:147], v[70:71], v[62:63] op_sel_hi:[1,0]
	s_nop 0
	v_pk_fma_f32 v[150:151], v[70:71], v[60:61], v[146:147] op_sel:[0,0,1] op_sel_hi:[1,1,0] neg_lo:[0,0,1] neg_hi:[0,0,1]
	v_pk_fma_f32 v[70:71], v[70:71], v[60:61], v[146:147] op_sel:[0,0,1] op_sel_hi:[1,0,0]
	v_pk_fma_f32 v[146:147], v[52:53], s[24:25], v[90:91]
	v_mov_b32_e32 v151, v71
	v_pk_mul_f32 v[70:71], v[88:89], s[36:37]
	v_mov_b32_e32 v79, v147
	v_pk_fma_f32 v[86:87], v[86:87], s[18:19], v[70:71] neg_lo:[1,0,0] neg_hi:[1,0,0]
	v_pk_fma_f32 v[88:89], v[64:65], s[18:19], v[70:71]
	s_nop 0
	v_mov_b32_e32 v87, v89
	v_pk_add_f32 v[86:87], v[86:87], v[6:7]
	s_nop 0
	v_pk_add_f32 v[78:79], v[78:79], v[86:87]
	v_pk_mul_f32 v[86:87], v[92:93], s[30:31]
	s_nop 0
	v_pk_fma_f32 v[58:59], v[58:59], s[10:11], v[86:87] neg_lo:[1,0,0] neg_hi:[1,0,0]
	v_pk_fma_f32 v[92:93], v[42:43], s[10:11], v[86:87]
	s_nop 0
	v_mov_b32_e32 v59, v93
	v_pk_add_f32 v[58:59], v[58:59], v[78:79]
	v_pk_mul_f32 v[78:79], v[94:95], s[40:41]
	s_nop 0
	v_pk_fma_f32 v[44:45], v[44:45], s[26:27], v[78:79] neg_lo:[1,0,0] neg_hi:[1,0,0]
	v_pk_fma_f32 v[94:95], v[36:37], s[26:27], v[78:79]
	s_nop 0
	v_mov_b32_e32 v45, v95
	;; [unrolled: 7-line block ×3, first 2 shown]
	v_pk_add_f32 v[34:35], v[34:35], v[44:45]
	s_nop 0
	v_pk_mul_f32 v[44:45], v[34:35], v[50:51] op_sel_hi:[1,0]
	s_nop 0
	v_pk_fma_f32 v[152:153], v[34:35], v[48:49], v[44:45] op_sel:[0,0,1] op_sel_hi:[1,1,0] neg_lo:[0,0,1] neg_hi:[0,0,1]
	v_pk_fma_f32 v[34:35], v[34:35], v[48:49], v[44:45] op_sel:[0,0,1] op_sel_hi:[1,0,0]
	v_pk_fma_f32 v[44:45], v[52:53], s[24:25], v[90:91] neg_lo:[0,0,1] neg_hi:[0,0,1]
	v_mov_b32_e32 v153, v35
	v_pk_fma_f32 v[34:35], v[64:65], s[18:19], v[70:71] neg_lo:[0,0,1] neg_hi:[0,0,1]
	v_mov_b32_e32 v147, v45
	v_mov_b32_e32 v89, v35
	v_pk_add_f32 v[34:35], v[88:89], v[6:7]
	v_pk_fma_f32 v[44:45], v[42:43], s[10:11], v[86:87] neg_lo:[0,0,1] neg_hi:[0,0,1]
	v_pk_add_f32 v[34:35], v[146:147], v[34:35]
	v_mov_b32_e32 v93, v45
	v_pk_fma_f32 v[44:45], v[36:37], s[26:27], v[78:79] neg_lo:[0,0,1] neg_hi:[0,0,1]
	v_pk_add_f32 v[34:35], v[92:93], v[34:35]
	v_mov_b32_e32 v95, v45
	;; [unrolled: 3-line block ×3, first 2 shown]
	v_pk_add_f32 v[34:35], v[96:97], v[34:35]
	ds_write2_b64 v4, v[150:151], v[152:153] offset0:44 offset1:55
	v_pk_mul_f32 v[26:27], v[34:35], v[26:27] op_sel_hi:[1,0]
	s_nop 0
	v_pk_fma_f32 v[44:45], v[34:35], v[24:25], v[26:27] op_sel:[0,0,1] op_sel_hi:[1,1,0] neg_lo:[0,0,1] neg_hi:[0,0,1]
	v_pk_fma_f32 v[24:25], v[34:35], v[24:25], v[26:27] op_sel:[0,0,1] op_sel_hi:[1,0,0]
	v_pk_fma_f32 v[26:27], v[52:53], s[22:23], v[132:133] neg_lo:[0,0,1] neg_hi:[0,0,1]
	v_mov_b32_e32 v45, v25
	v_pk_fma_f32 v[24:25], v[64:65], s[10:11], v[68:69] neg_lo:[0,0,1] neg_hi:[0,0,1]
	v_mov_b32_e32 v137, v27
	v_mov_b32_e32 v131, v25
	v_pk_add_f32 v[24:25], v[130:131], v[6:7]
	v_pk_fma_f32 v[26:27], v[42:43], s[0:1], v[134:135] neg_lo:[0,0,1] neg_hi:[0,0,1]
	v_pk_add_f32 v[24:25], v[136:137], v[24:25]
	v_mov_b32_e32 v141, v27
	v_pk_fma_f32 v[26:27], v[36:37], s[18:19], v[138:139] neg_lo:[0,0,1] neg_hi:[0,0,1]
	v_pk_add_f32 v[24:25], v[140:141], v[24:25]
	v_mov_b32_e32 v145, v27
	;; [unrolled: 3-line block ×3, first 2 shown]
	v_pk_add_f32 v[24:25], v[148:149], v[24:25]
	s_nop 0
	v_pk_mul_f32 v[22:23], v[24:25], v[22:23] op_sel_hi:[1,0]
	s_nop 0
	v_pk_fma_f32 v[26:27], v[24:25], v[20:21], v[22:23] op_sel:[0,0,1] op_sel_hi:[1,1,0] neg_lo:[0,0,1] neg_hi:[0,0,1]
	v_pk_fma_f32 v[20:21], v[24:25], v[20:21], v[22:23] op_sel:[0,0,1] op_sel_hi:[1,0,0]
	v_pk_fma_f32 v[22:23], v[52:53], s[20:21], v[118:119] neg_lo:[0,0,1] neg_hi:[0,0,1]
	v_mov_b32_e32 v27, v21
	v_pk_fma_f32 v[20:21], v[64:65], s[8:9], v[116:117] neg_lo:[0,0,1] neg_hi:[0,0,1]
	v_mov_b32_e32 v73, v23
	v_mov_b32_e32 v115, v21
	v_pk_add_f32 v[20:21], v[114:115], v[6:7]
	v_pk_fma_f32 v[22:23], v[42:43], s[26:27], v[120:121] neg_lo:[0,0,1] neg_hi:[0,0,1]
	v_pk_add_f32 v[20:21], v[72:73], v[20:21]
	v_mov_b32_e32 v75, v23
	v_pk_fma_f32 v[22:23], v[36:37], s[0:1], v[124:125] neg_lo:[0,0,1] neg_hi:[0,0,1]
	v_pk_add_f32 v[20:21], v[74:75], v[20:21]
	v_mov_b32_e32 v123, v23
	v_pk_fma_f32 v[22:23], v[28:29], s[10:11], v[128:129] neg_lo:[0,0,1] neg_hi:[0,0,1]
	v_pk_add_f32 v[20:21], v[122:123], v[20:21]
	v_mov_b32_e32 v127, v23
	v_pk_add_f32 v[20:21], v[126:127], v[20:21]
	ds_write2_b64 v4, v[44:45], v[26:27] offset0:66 offset1:77
	v_pk_mul_f32 v[18:19], v[20:21], v[18:19] op_sel_hi:[1,0]
	s_nop 0
	v_pk_fma_f32 v[22:23], v[20:21], v[16:17], v[18:19] op_sel:[0,0,1] op_sel_hi:[1,1,0] neg_lo:[0,0,1] neg_hi:[0,0,1]
	v_pk_fma_f32 v[16:17], v[20:21], v[16:17], v[18:19] op_sel:[0,0,1] op_sel_hi:[1,0,0]
	v_pk_fma_f32 v[18:19], v[52:53], s[10:11], v[100:101] neg_lo:[0,0,1] neg_hi:[0,0,1]
	v_mov_b32_e32 v23, v17
	v_pk_fma_f32 v[16:17], v[64:65], s[6:7], v[98:99] neg_lo:[0,0,1] neg_hi:[0,0,1]
	v_mov_b32_e32 v83, v19
	v_mov_b32_e32 v85, v17
	v_pk_add_f32 v[16:17], v[84:85], v[6:7]
	v_pk_fma_f32 v[18:19], v[42:43], s[20:21], v[104:105] neg_lo:[0,0,1] neg_hi:[0,0,1]
	v_pk_add_f32 v[16:17], v[82:83], v[16:17]
	v_mov_b32_e32 v103, v19
	v_pk_fma_f32 v[18:19], v[36:37], s[22:23], v[108:109] neg_lo:[0,0,1] neg_hi:[0,0,1]
	v_pk_add_f32 v[16:17], v[102:103], v[16:17]
	v_mov_b32_e32 v107, v19
	;; [unrolled: 3-line block ×3, first 2 shown]
	v_pk_add_f32 v[16:17], v[110:111], v[16:17]
	s_nop 0
	v_pk_mul_f32 v[12:13], v[16:17], v[12:13] op_sel_hi:[1,0]
	s_nop 0
	v_pk_fma_f32 v[18:19], v[16:17], v[8:9], v[12:13] op_sel:[0,0,1] op_sel_hi:[1,1,0] neg_lo:[0,0,1] neg_hi:[0,0,1]
	v_pk_fma_f32 v[8:9], v[16:17], v[8:9], v[12:13] op_sel:[0,0,1] op_sel_hi:[1,0,0]
	s_nop 0
	v_mov_b32_e32 v19, v9
	v_pk_fma_f32 v[8:9], v[64:65], s[0:1], v[80:81] neg_lo:[0,0,1] neg_hi:[0,0,1]
	ds_write2_b64 v4, v[22:23], v[18:19] offset0:88 offset1:99
	v_mov_b32_e32 v67, v9
	v_pk_fma_f32 v[8:9], v[52:53], s[6:7], v[76:77] neg_lo:[0,0,1] neg_hi:[0,0,1]
	v_pk_add_f32 v[6:7], v[66:67], v[6:7]
	v_mov_b32_e32 v57, v9
	v_pk_fma_f32 v[8:9], v[42:43], s[8:9], v[54:55] neg_lo:[0,0,1] neg_hi:[0,0,1]
	v_pk_add_f32 v[6:7], v[56:57], v[6:7]
	;; [unrolled: 3-line block ×4, first 2 shown]
	v_mov_b32_e32 v31, v9
	v_pk_add_f32 v[6:7], v[30:31], v[6:7]
	s_nop 0
	v_pk_mul_f32 v[8:9], v[6:7], v[14:15] op_sel_hi:[1,0]
	s_nop 0
	v_pk_fma_f32 v[12:13], v[6:7], v[10:11], v[8:9] op_sel:[0,0,1] op_sel_hi:[1,1,0] neg_lo:[0,0,1] neg_hi:[0,0,1]
	v_pk_fma_f32 v[6:7], v[6:7], v[10:11], v[8:9] op_sel:[0,0,1] op_sel_hi:[1,0,0]
	s_nop 0
	v_mov_b32_e32 v13, v7
	ds_write_b64 v4, v[12:13] offset:880
	s_waitcnt lgkmcnt(0)
	s_barrier
	s_and_saveexec_b64 s[0:1], s[4:5]
	s_cbranch_execz .LBB0_19
; %bb.18:
	v_mad_u64_u32 v[10:11], s[0:1], s14, v0, 0
	v_mov_b32_e32 v4, v11
	v_mad_u64_u32 v[12:13], s[0:1], s12, v2, 0
	v_mad_u64_u32 v[6:7], s[0:1], s15, v0, v[4:5]
	v_mov_b32_e32 v4, v13
	v_mov_b32_e32 v11, v6
	v_mad_u64_u32 v[6:7], s[0:1], s13, v2, v[4:5]
	s_movk_i32 s0, 0x3c8
	s_nop 0
	v_mul_lo_u32 v0, v0, s0
	v_add3_u32 v3, 0, v0, v63
	v_mov_b32_e32 v13, v6
	s_lshl_b64 s[0:1], s[2:3], 3
	ds_read2_b64 v[6:9], v3 offset1:11
	s_add_u32 s0, s16, s0
	s_addc_u32 s1, s17, s1
	v_lshl_add_u64 v[10:11], v[10:11], 3, s[0:1]
	v_lshl_add_u64 v[12:13], v[12:13], 3, v[10:11]
	s_waitcnt lgkmcnt(0)
	global_store_dwordx2 v[12:13], v[6:7], off
	v_mad_u64_u32 v[6:7], s[0:1], s12, v61, 0
	v_mov_b32_e32 v0, v7
	v_mad_u64_u32 v[12:13], s[0:1], s13, v61, v[0:1]
	v_mov_b32_e32 v7, v12
	v_lshl_add_u64 v[6:7], v[6:7], 3, v[10:11]
	global_store_dwordx2 v[6:7], v[8:9], off
	v_mad_u64_u32 v[12:13], s[0:1], s12, v51, 0
	ds_read2_b64 v[6:9], v3 offset0:22 offset1:33
	v_mov_b32_e32 v0, v13
	v_mad_u64_u32 v[14:15], s[0:1], s13, v51, v[0:1]
	v_mov_b32_e32 v13, v14
	v_lshl_add_u64 v[12:13], v[12:13], 3, v[10:11]
	s_waitcnt lgkmcnt(0)
	global_store_dwordx2 v[12:13], v[6:7], off
	v_mad_u64_u32 v[6:7], s[0:1], s12, v49, 0
	v_mov_b32_e32 v0, v7
	v_mad_u64_u32 v[12:13], s[0:1], s13, v49, v[0:1]
	v_mov_b32_e32 v7, v12
	v_lshl_add_u64 v[6:7], v[6:7], 3, v[10:11]
	global_store_dwordx2 v[6:7], v[8:9], off
	v_mad_u64_u32 v[12:13], s[0:1], s12, v5, 0
	ds_read2_b64 v[6:9], v3 offset0:44 offset1:55
	v_mov_b32_e32 v0, v13
	v_mad_u64_u32 v[4:5], s[0:1], s13, v5, v[0:1]
	v_mov_b32_e32 v13, v4
	v_lshl_add_u64 v[4:5], v[12:13], 3, v[10:11]
	s_waitcnt lgkmcnt(0)
	global_store_dwordx2 v[4:5], v[6:7], off
	v_mad_u64_u32 v[4:5], s[0:1], s12, v1, 0
	v_mov_b32_e32 v0, v5
	v_mad_u64_u32 v[0:1], s[0:1], s13, v1, v[0:1]
	v_mov_b32_e32 v5, v0
	v_lshl_add_u64 v[0:1], v[4:5], 3, v[10:11]
	global_store_dwordx2 v[0:1], v[8:9], off
	v_add_u32_e32 v9, 0x42, v2
	v_mad_u64_u32 v[0:1], s[0:1], s12, v9, 0
	ds_read2_b64 v[4:7], v3 offset0:66 offset1:77
	v_mov_b32_e32 v8, v1
	v_mad_u64_u32 v[8:9], s[0:1], s13, v9, v[8:9]
	v_mov_b32_e32 v1, v8
	v_lshl_add_u64 v[0:1], v[0:1], 3, v[10:11]
	s_waitcnt lgkmcnt(0)
	global_store_dwordx2 v[0:1], v[4:5], off
	v_add_u32_e32 v5, 0x4d, v2
	v_mad_u64_u32 v[0:1], s[0:1], s12, v5, 0
	v_mov_b32_e32 v4, v1
	v_mad_u64_u32 v[4:5], s[0:1], s13, v5, v[4:5]
	v_mov_b32_e32 v1, v4
	v_lshl_add_u64 v[0:1], v[0:1], 3, v[10:11]
	v_add_u32_e32 v9, 0x58, v2
	global_store_dwordx2 v[0:1], v[6:7], off
	v_mad_u64_u32 v[0:1], s[0:1], s12, v9, 0
	ds_read2_b64 v[4:7], v3 offset0:88 offset1:99
	v_mov_b32_e32 v8, v1
	v_mad_u64_u32 v[8:9], s[0:1], s13, v9, v[8:9]
	v_mov_b32_e32 v1, v8
	v_lshl_add_u64 v[0:1], v[0:1], 3, v[10:11]
	s_waitcnt lgkmcnt(0)
	global_store_dwordx2 v[0:1], v[4:5], off
	v_add_u32_e32 v5, 0x63, v2
	v_mad_u64_u32 v[0:1], s[0:1], s12, v5, 0
	v_mov_b32_e32 v4, v1
	v_mad_u64_u32 v[4:5], s[0:1], s13, v5, v[4:5]
	v_mov_b32_e32 v1, v4
	v_lshl_add_u64 v[0:1], v[0:1], 3, v[10:11]
	global_store_dwordx2 v[0:1], v[6:7], off
	v_add_u32_e32 v6, 0x6e, v2
	v_mad_u64_u32 v[0:1], s[0:1], s12, v6, 0
	ds_read_b64 v[4:5], v3 offset:880
	v_mov_b32_e32 v2, v1
	v_mad_u64_u32 v[2:3], s[0:1], s13, v6, v[2:3]
	v_mov_b32_e32 v1, v2
	v_lshl_add_u64 v[0:1], v[0:1], 3, v[10:11]
	s_waitcnt lgkmcnt(0)
	global_store_dwordx2 v[0:1], v[4:5], off
.LBB0_19:
	s_endpgm
	.section	.rodata,"a",@progbits
	.p2align	6, 0x0
	.amdhsa_kernel fft_rtc_fwd_len121_factors_11_11_wgs_121_tpt_11_sp_ip_CI_sbcc_twdbase6_3step
		.amdhsa_group_segment_fixed_size 0
		.amdhsa_private_segment_fixed_size 0
		.amdhsa_kernarg_size 96
		.amdhsa_user_sgpr_count 2
		.amdhsa_user_sgpr_dispatch_ptr 0
		.amdhsa_user_sgpr_queue_ptr 0
		.amdhsa_user_sgpr_kernarg_segment_ptr 1
		.amdhsa_user_sgpr_dispatch_id 0
		.amdhsa_user_sgpr_kernarg_preload_length 0
		.amdhsa_user_sgpr_kernarg_preload_offset 0
		.amdhsa_user_sgpr_private_segment_size 0
		.amdhsa_uses_dynamic_stack 0
		.amdhsa_enable_private_segment 0
		.amdhsa_system_sgpr_workgroup_id_x 1
		.amdhsa_system_sgpr_workgroup_id_y 0
		.amdhsa_system_sgpr_workgroup_id_z 0
		.amdhsa_system_sgpr_workgroup_info 0
		.amdhsa_system_vgpr_workitem_id 0
		.amdhsa_next_free_vgpr 154
		.amdhsa_next_free_sgpr 50
		.amdhsa_accum_offset 156
		.amdhsa_reserve_vcc 1
		.amdhsa_float_round_mode_32 0
		.amdhsa_float_round_mode_16_64 0
		.amdhsa_float_denorm_mode_32 3
		.amdhsa_float_denorm_mode_16_64 3
		.amdhsa_dx10_clamp 1
		.amdhsa_ieee_mode 1
		.amdhsa_fp16_overflow 0
		.amdhsa_tg_split 0
		.amdhsa_exception_fp_ieee_invalid_op 0
		.amdhsa_exception_fp_denorm_src 0
		.amdhsa_exception_fp_ieee_div_zero 0
		.amdhsa_exception_fp_ieee_overflow 0
		.amdhsa_exception_fp_ieee_underflow 0
		.amdhsa_exception_fp_ieee_inexact 0
		.amdhsa_exception_int_div_zero 0
	.end_amdhsa_kernel
	.text
.Lfunc_end0:
	.size	fft_rtc_fwd_len121_factors_11_11_wgs_121_tpt_11_sp_ip_CI_sbcc_twdbase6_3step, .Lfunc_end0-fft_rtc_fwd_len121_factors_11_11_wgs_121_tpt_11_sp_ip_CI_sbcc_twdbase6_3step
                                        ; -- End function
	.section	.AMDGPU.csdata,"",@progbits
; Kernel info:
; codeLenInByte = 9416
; NumSgprs: 56
; NumVgprs: 154
; NumAgprs: 0
; TotalNumVgprs: 154
; ScratchSize: 0
; MemoryBound: 0
; FloatMode: 240
; IeeeMode: 1
; LDSByteSize: 0 bytes/workgroup (compile time only)
; SGPRBlocks: 6
; VGPRBlocks: 19
; NumSGPRsForWavesPerEU: 56
; NumVGPRsForWavesPerEU: 154
; AccumOffset: 156
; Occupancy: 3
; WaveLimiterHint : 1
; COMPUTE_PGM_RSRC2:SCRATCH_EN: 0
; COMPUTE_PGM_RSRC2:USER_SGPR: 2
; COMPUTE_PGM_RSRC2:TRAP_HANDLER: 0
; COMPUTE_PGM_RSRC2:TGID_X_EN: 1
; COMPUTE_PGM_RSRC2:TGID_Y_EN: 0
; COMPUTE_PGM_RSRC2:TGID_Z_EN: 0
; COMPUTE_PGM_RSRC2:TIDIG_COMP_CNT: 0
; COMPUTE_PGM_RSRC3_GFX90A:ACCUM_OFFSET: 38
; COMPUTE_PGM_RSRC3_GFX90A:TG_SPLIT: 0
	.text
	.p2alignl 6, 3212836864
	.fill 256, 4, 3212836864
	.type	__hip_cuid_2ee6ed212356e1f3,@object ; @__hip_cuid_2ee6ed212356e1f3
	.section	.bss,"aw",@nobits
	.globl	__hip_cuid_2ee6ed212356e1f3
__hip_cuid_2ee6ed212356e1f3:
	.byte	0                               ; 0x0
	.size	__hip_cuid_2ee6ed212356e1f3, 1

	.ident	"AMD clang version 19.0.0git (https://github.com/RadeonOpenCompute/llvm-project roc-6.4.0 25133 c7fe45cf4b819c5991fe208aaa96edf142730f1d)"
	.section	".note.GNU-stack","",@progbits
	.addrsig
	.addrsig_sym __hip_cuid_2ee6ed212356e1f3
	.amdgpu_metadata
---
amdhsa.kernels:
  - .agpr_count:     0
    .args:
      - .actual_access:  read_only
        .address_space:  global
        .offset:         0
        .size:           8
        .value_kind:     global_buffer
      - .address_space:  global
        .offset:         8
        .size:           8
        .value_kind:     global_buffer
      - .offset:         16
        .size:           8
        .value_kind:     by_value
      - .actual_access:  read_only
        .address_space:  global
        .offset:         24
        .size:           8
        .value_kind:     global_buffer
      - .actual_access:  read_only
        .address_space:  global
        .offset:         32
        .size:           8
        .value_kind:     global_buffer
      - .offset:         40
        .size:           8
        .value_kind:     by_value
      - .actual_access:  read_only
        .address_space:  global
        .offset:         48
        .size:           8
        .value_kind:     global_buffer
      - .actual_access:  read_only
        .address_space:  global
        .offset:         56
        .size:           8
        .value_kind:     global_buffer
      - .offset:         64
        .size:           4
        .value_kind:     by_value
      - .actual_access:  read_only
        .address_space:  global
        .offset:         72
        .size:           8
        .value_kind:     global_buffer
      - .actual_access:  read_only
        .address_space:  global
        .offset:         80
        .size:           8
        .value_kind:     global_buffer
      - .address_space:  global
        .offset:         88
        .size:           8
        .value_kind:     global_buffer
    .group_segment_fixed_size: 0
    .kernarg_segment_align: 8
    .kernarg_segment_size: 96
    .language:       OpenCL C
    .language_version:
      - 2
      - 0
    .max_flat_workgroup_size: 121
    .name:           fft_rtc_fwd_len121_factors_11_11_wgs_121_tpt_11_sp_ip_CI_sbcc_twdbase6_3step
    .private_segment_fixed_size: 0
    .sgpr_count:     56
    .sgpr_spill_count: 0
    .symbol:         fft_rtc_fwd_len121_factors_11_11_wgs_121_tpt_11_sp_ip_CI_sbcc_twdbase6_3step.kd
    .uniform_work_group_size: 1
    .uses_dynamic_stack: false
    .vgpr_count:     154
    .vgpr_spill_count: 0
    .wavefront_size: 64
amdhsa.target:   amdgcn-amd-amdhsa--gfx950
amdhsa.version:
  - 1
  - 2
...

	.end_amdgpu_metadata
